;; amdgpu-corpus repo=ROCm/rocFFT kind=compiled arch=gfx906 opt=O3
	.text
	.amdgcn_target "amdgcn-amd-amdhsa--gfx906"
	.amdhsa_code_object_version 6
	.protected	bluestein_single_fwd_len165_dim1_dp_op_CI_CI ; -- Begin function bluestein_single_fwd_len165_dim1_dp_op_CI_CI
	.globl	bluestein_single_fwd_len165_dim1_dp_op_CI_CI
	.p2align	8
	.type	bluestein_single_fwd_len165_dim1_dp_op_CI_CI,@function
bluestein_single_fwd_len165_dim1_dp_op_CI_CI: ; @bluestein_single_fwd_len165_dim1_dp_op_CI_CI
; %bb.0:
	v_mul_u32_u24_e32 v1, 0x1746, v0
	s_mov_b64 s[42:43], s[2:3]
	s_load_dwordx4 s[8:11], s[4:5], 0x28
	v_lshrrev_b32_e32 v1, 16, v1
	s_mov_b64 s[40:41], s[0:1]
	v_mad_u64_u32 v[210:211], s[0:1], s6, 5, v[1:2]
	v_mov_b32_e32 v211, 0
	s_add_u32 s40, s40, s7
	s_waitcnt lgkmcnt(0)
	v_cmp_gt_u64_e32 vcc, s[8:9], v[210:211]
	s_addc_u32 s41, s41, 0
	s_and_saveexec_b64 s[0:1], vcc
	s_cbranch_execz .LBB0_15
; %bb.1:
	s_load_dwordx4 s[0:3], s[4:5], 0x18
	v_mul_lo_u16_e32 v1, 11, v1
	v_sub_u16_e32 v255, v0, v1
	v_lshlrev_b32_e32 v247, 4, v255
	v_or_b32_e32 v243, 56, v255
	s_waitcnt lgkmcnt(0)
	s_load_dwordx4 s[12:15], s[0:1], 0x0
	s_waitcnt lgkmcnt(0)
	v_mad_u64_u32 v[0:1], s[0:1], s14, v210, 0
	v_mad_u64_u32 v[2:3], s[0:1], s12, v255, 0
	v_mad_u64_u32 v[4:5], s[0:1], s15, v210, v[1:2]
	s_load_dwordx2 s[14:15], s[4:5], 0x0
	v_mad_u64_u32 v[5:6], s[0:1], s13, v255, v[3:4]
	v_mov_b32_e32 v1, v4
	v_lshlrev_b64 v[0:1], 4, v[0:1]
	v_mov_b32_e32 v6, s11
	v_mov_b32_e32 v3, v5
	v_add_co_u32_e32 v46, vcc, s10, v0
	v_addc_co_u32_e32 v47, vcc, v6, v1, vcc
	v_lshlrev_b64 v[0:1], 4, v[2:3]
	s_mul_i32 s0, s13, 15
	s_mul_hi_u32 s1, s12, 15
	v_add_co_u32_e32 v0, vcc, v46, v0
	s_add_i32 s1, s1, s0
	s_mul_i32 s0, s12, 15
	v_addc_co_u32_e32 v1, vcc, v47, v1, vcc
	s_lshl_b64 s[16:17], s[0:1], 4
	v_mov_b32_e32 v4, s17
	v_add_co_u32_e32 v2, vcc, s16, v0
	v_addc_co_u32_e32 v3, vcc, v1, v4, vcc
	global_load_dwordx4 v[48:51], v[0:1], off
	global_load_dwordx4 v[52:55], v[2:3], off
	s_waitcnt lgkmcnt(0)
	global_load_dwordx4 v[40:43], v247, s[14:15]
	global_load_dwordx4 v[32:35], v247, s[14:15] offset:240
	v_add_co_u32_e32 v0, vcc, s16, v2
	v_addc_co_u32_e32 v1, vcc, v3, v4, vcc
	v_add_co_u32_e32 v2, vcc, s16, v0
	v_addc_co_u32_e32 v3, vcc, v1, v4, vcc
	global_load_dwordx4 v[56:59], v[0:1], off
	global_load_dwordx4 v[60:63], v[2:3], off
	global_load_dwordx4 v[36:39], v247, s[14:15] offset:480
	global_load_dwordx4 v[20:23], v247, s[14:15] offset:720
	v_add_co_u32_e32 v0, vcc, s16, v2
	v_addc_co_u32_e32 v1, vcc, v3, v4, vcc
	global_load_dwordx4 v[64:67], v[0:1], off
	v_add_co_u32_e32 v0, vcc, s16, v0
	v_addc_co_u32_e32 v1, vcc, v1, v4, vcc
	global_load_dwordx4 v[68:71], v[0:1], off
	global_load_dwordx4 v[28:31], v247, s[14:15] offset:960
	global_load_dwordx4 v[9:12], v247, s[14:15] offset:1200
	v_add_co_u32_e32 v0, vcc, s16, v0
	v_addc_co_u32_e32 v1, vcc, v1, v4, vcc
	global_load_dwordx4 v[72:75], v[0:1], off
	v_add_co_u32_e32 v0, vcc, s16, v0
	v_addc_co_u32_e32 v1, vcc, v1, v4, vcc
	global_load_dwordx4 v[76:79], v[0:1], off
	global_load_dwordx4 v[24:27], v247, s[14:15] offset:1440
	global_load_dwordx4 v[108:111], v247, s[14:15] offset:1680
	v_add_co_u32_e32 v0, vcc, s16, v0
	v_addc_co_u32_e32 v1, vcc, v1, v4, vcc
	s_mov_b32 s0, 0xcccccccd
	global_load_dwordx4 v[80:83], v[0:1], off
	v_add_co_u32_e32 v16, vcc, s16, v0
	v_mul_hi_u32 v0, v210, s0
	v_addc_co_u32_e32 v17, vcc, v1, v4, vcc
	v_add_co_u32_e32 v44, vcc, s16, v16
	v_lshrrev_b32_e32 v0, 2, v0
	v_lshl_add_u32 v0, v0, 2, v0
	v_sub_u32_e32 v0, v210, v0
	v_mul_u32_u24_e32 v0, 0xa5, v0
	global_load_dwordx4 v[84:87], v[16:17], off
	global_load_dwordx4 v[5:8], v247, s[14:15] offset:1920
	global_load_dwordx4 v[104:107], v247, s[14:15] offset:2160
	v_addc_co_u32_e32 v45, vcc, v17, v4, vcc
	v_lshlrev_b32_e32 v4, 4, v0
	v_add_u32_e32 v244, v247, v4
	global_load_dwordx4 v[88:91], v[44:45], off
	global_load_dwordx4 v[16:19], v247, s[14:15] offset:2400
	s_load_dwordx2 s[6:7], s[4:5], 0x38
	s_load_dwordx4 s[8:11], s[2:3], 0x0
	v_mov_b32_e32 v1, s15
	v_add_co_u32_e32 v208, vcc, s14, v247
	v_addc_co_u32_e32 v209, vcc, 0, v1, vcc
	v_cmp_gt_u16_e32 vcc, 4, v255
	s_waitcnt vmcnt(19)
	v_mul_f64 v[92:93], v[50:51], v[42:43]
	v_mul_f64 v[94:95], v[48:49], v[42:43]
	s_waitcnt vmcnt(18)
	v_mul_f64 v[96:97], v[54:55], v[34:35]
	v_mul_f64 v[98:99], v[52:53], v[34:35]
	v_fma_f64 v[48:49], v[48:49], v[40:41], v[92:93]
	s_waitcnt vmcnt(15)
	v_mul_f64 v[100:101], v[58:59], v[38:39]
	v_mul_f64 v[102:103], v[56:57], v[38:39]
	v_fma_f64 v[50:51], v[50:51], v[40:41], -v[94:95]
	v_fma_f64 v[52:53], v[52:53], v[32:33], v[96:97]
	v_fma_f64 v[54:55], v[54:55], v[32:33], -v[98:99]
	v_fma_f64 v[56:57], v[56:57], v[36:37], v[100:101]
	v_fma_f64 v[58:59], v[58:59], v[36:37], -v[102:103]
	ds_write_b128 v244, v[48:51]
	ds_write_b128 v244, v[52:55] offset:240
	ds_write_b128 v244, v[56:59] offset:480
	s_waitcnt vmcnt(10)
	v_mul_f64 v[56:57], v[70:71], v[11:12]
	v_mul_f64 v[58:59], v[68:69], v[11:12]
	;; [unrolled: 1-line block ×4, first 2 shown]
	s_waitcnt vmcnt(7)
	v_mul_f64 v[92:93], v[74:75], v[26:27]
	v_mul_f64 v[54:55], v[64:65], v[30:31]
	v_mul_f64 v[50:51], v[60:61], v[22:23]
	v_mul_f64 v[94:95], v[72:73], v[26:27]
	v_fma_f64 v[56:57], v[68:69], v[9:10], v[56:57]
	buffer_store_dword v9, off, s[40:43], 0 offset:48 ; 4-byte Folded Spill
	s_nop 0
	buffer_store_dword v10, off, s[40:43], 0 offset:52 ; 4-byte Folded Spill
	buffer_store_dword v11, off, s[40:43], 0 offset:56 ; 4-byte Folded Spill
	buffer_store_dword v12, off, s[40:43], 0 offset:60 ; 4-byte Folded Spill
	v_fma_f64 v[52:53], v[64:65], v[28:29], v[52:53]
	s_waitcnt vmcnt(10)
	v_mul_f64 v[64:65], v[78:79], v[110:111]
	v_fma_f64 v[48:49], v[60:61], v[20:21], v[48:49]
	v_fma_f64 v[60:61], v[72:73], v[24:25], v[92:93]
	v_fma_f64 v[54:55], v[66:67], v[28:29], -v[54:55]
	v_mul_f64 v[66:67], v[76:77], v[110:111]
	v_fma_f64 v[50:51], v[62:63], v[20:21], -v[50:51]
	v_fma_f64 v[62:63], v[74:75], v[24:25], -v[94:95]
	v_fma_f64 v[64:65], v[76:77], v[108:109], v[64:65]
	buffer_store_dword v108, off, s[40:43], 0 offset:16 ; 4-byte Folded Spill
	s_nop 0
	buffer_store_dword v109, off, s[40:43], 0 offset:20 ; 4-byte Folded Spill
	buffer_store_dword v110, off, s[40:43], 0 offset:24 ; 4-byte Folded Spill
	;; [unrolled: 1-line block ×3, first 2 shown]
	s_waitcnt vmcnt(11)
	v_mul_f64 v[68:69], v[82:83], v[7:8]
	s_waitcnt vmcnt(10)
	v_mul_f64 v[72:73], v[86:87], v[106:107]
	v_mul_f64 v[74:75], v[84:85], v[106:107]
	s_waitcnt vmcnt(8)
	v_mul_f64 v[92:93], v[90:91], v[18:19]
	v_mul_f64 v[94:95], v[88:89], v[18:19]
	v_fma_f64 v[68:69], v[80:81], v[5:6], v[68:69]
	v_fma_f64 v[72:73], v[84:85], v[104:105], v[72:73]
	v_fma_f64 v[76:77], v[88:89], v[16:17], v[92:93]
	v_fma_f64 v[58:59], v[70:71], v[9:10], -v[58:59]
	v_mul_f64 v[70:71], v[80:81], v[7:8]
	buffer_store_dword v5, off, s[40:43], 0 offset:32 ; 4-byte Folded Spill
	s_nop 0
	buffer_store_dword v6, off, s[40:43], 0 offset:36 ; 4-byte Folded Spill
	buffer_store_dword v7, off, s[40:43], 0 offset:40 ; 4-byte Folded Spill
	;; [unrolled: 1-line block ×3, first 2 shown]
	buffer_store_dword v104, off, s[40:43], 0 ; 4-byte Folded Spill
	s_nop 0
	buffer_store_dword v105, off, s[40:43], 0 offset:4 ; 4-byte Folded Spill
	buffer_store_dword v106, off, s[40:43], 0 offset:8 ; 4-byte Folded Spill
	;; [unrolled: 1-line block ×3, first 2 shown]
	v_fma_f64 v[66:67], v[78:79], v[108:109], -v[66:67]
	v_fma_f64 v[78:79], v[90:91], v[16:17], -v[94:95]
	;; [unrolled: 1-line block ×4, first 2 shown]
	ds_write_b128 v244, v[48:51] offset:720
	ds_write_b128 v244, v[52:55] offset:960
	;; [unrolled: 1-line block ×8, first 2 shown]
	s_and_saveexec_b64 s[2:3], vcc
	s_cbranch_execz .LBB0_3
; %bb.2:
	v_mov_b32_e32 v0, 0xfffff750
	v_mad_u64_u32 v[44:45], s[0:1], s12, v0, v[44:45]
	s_mul_i32 s0, s13, 0xfffff750
	s_sub_i32 s0, s0, s12
	v_add_u32_e32 v45, s0, v45
	global_load_dwordx4 v[48:51], v[44:45], off
	v_mov_b32_e32 v0, s17
	v_add_co_u32_e64 v44, s[0:1], s16, v44
	v_addc_co_u32_e64 v45, s[0:1], v45, v0, s[0:1]
	v_mad_u64_u32 v[68:69], s[0:1], s12, v243, 0
	global_load_dwordx4 v[52:55], v[44:45], off
	global_load_dwordx4 v[56:59], v[208:209], off offset:176
	global_load_dwordx4 v[60:63], v[208:209], off offset:416
	v_mov_b32_e32 v1, 0x1e0
	v_mov_b32_e32 v64, v69
	v_mad_u64_u32 v[69:70], s[0:1], s13, v243, v[64:65]
	v_add_co_u32_e64 v44, s[0:1], s16, v44
	v_lshlrev_b64 v[68:69], 4, v[68:69]
	v_addc_co_u32_e64 v45, s[0:1], v45, v0, s[0:1]
	v_add_co_u32_e64 v68, s[0:1], v46, v68
	global_load_dwordx4 v[64:67], v[44:45], off
	v_addc_co_u32_e64 v69, s[0:1], v47, v69, s[0:1]
	v_mad_u64_u32 v[44:45], s[0:1], s12, v1, v[44:45]
	s_mul_i32 s17, s13, 0x1e0
	global_load_dwordx4 v[68:71], v[68:69], off
	v_add_u32_e32 v45, s17, v45
	global_load_dwordx4 v[72:75], v[208:209], off offset:656
	global_load_dwordx4 v[76:79], v[208:209], off offset:896
	global_load_dwordx4 v[80:83], v[44:45], off
	v_add_co_u32_e64 v44, s[0:1], s16, v44
	v_or_b32_e32 v2, 0x74, v255
	v_addc_co_u32_e64 v45, s[0:1], v45, v0, s[0:1]
	v_mad_u64_u32 v[100:101], s[0:1], s12, v2, 0
	global_load_dwordx4 v[84:87], v[44:45], off
	global_load_dwordx4 v[88:91], v[208:209], off offset:1136
	global_load_dwordx4 v[92:95], v[208:209], off offset:1376
	v_mov_b32_e32 v96, v101
	v_mad_u64_u32 v[101:102], s[0:1], s13, v2, v[96:97]
	v_add_co_u32_e64 v44, s[0:1], s16, v44
	v_lshlrev_b64 v[100:101], 4, v[100:101]
	v_addc_co_u32_e64 v45, s[0:1], v45, v0, s[0:1]
	v_add_co_u32_e64 v108, s[0:1], v46, v100
	global_load_dwordx4 v[96:99], v[44:45], off
	v_addc_co_u32_e64 v109, s[0:1], v47, v101, s[0:1]
	v_mad_u64_u32 v[112:113], s[0:1], s12, v1, v[44:45]
	global_load_dwordx4 v[44:47], v[108:109], off
	global_load_dwordx4 v[100:103], v[208:209], off offset:1616
	global_load_dwordx4 v[104:107], v[208:209], off offset:1856
	v_add_u32_e32 v113, s17, v113
	v_add_co_u32_e64 v124, s[0:1], s16, v112
	v_addc_co_u32_e64 v125, s[0:1], v113, v0, s[0:1]
	global_load_dwordx4 v[108:111], v[112:113], off
	v_add_co_u32_e64 v128, s[0:1], s16, v124
	global_load_dwordx4 v[112:115], v[124:125], off
	global_load_dwordx4 v[116:119], v[208:209], off offset:2096
	global_load_dwordx4 v[120:123], v[208:209], off offset:2336
	v_addc_co_u32_e64 v129, s[0:1], v125, v0, s[0:1]
	global_load_dwordx4 v[124:127], v[208:209], off offset:2576
	s_nop 0
	global_load_dwordx4 v[128:131], v[128:129], off
	s_waitcnt vmcnt(19)
	v_mul_f64 v[132:133], v[50:51], v[58:59]
	v_mul_f64 v[58:59], v[48:49], v[58:59]
	s_waitcnt vmcnt(18)
	v_mul_f64 v[134:135], v[54:55], v[62:63]
	v_mul_f64 v[62:63], v[52:53], v[62:63]
	v_fma_f64 v[48:49], v[48:49], v[56:57], v[132:133]
	v_fma_f64 v[50:51], v[50:51], v[56:57], -v[58:59]
	v_fma_f64 v[52:53], v[52:53], v[60:61], v[134:135]
	v_fma_f64 v[54:55], v[54:55], v[60:61], -v[62:63]
	s_waitcnt vmcnt(15)
	v_mul_f64 v[136:137], v[66:67], v[74:75]
	v_mul_f64 v[74:75], v[64:65], v[74:75]
	s_waitcnt vmcnt(14)
	v_mul_f64 v[62:63], v[70:71], v[78:79]
	v_fma_f64 v[56:57], v[64:65], v[72:73], v[136:137]
	v_fma_f64 v[58:59], v[66:67], v[72:73], -v[74:75]
	v_mul_f64 v[64:65], v[68:69], v[78:79]
	s_waitcnt vmcnt(10)
	v_mul_f64 v[66:67], v[86:87], v[94:95]
	v_mul_f64 v[60:61], v[80:81], v[90:91]
	;; [unrolled: 1-line block ×4, first 2 shown]
	ds_write_b128 v244, v[48:51] offset:176
	ds_write_b128 v244, v[52:55] offset:416
	;; [unrolled: 1-line block ×3, first 2 shown]
	v_fma_f64 v[48:49], v[68:69], v[76:77], v[62:63]
	v_fma_f64 v[50:51], v[70:71], v[76:77], -v[64:65]
	v_fma_f64 v[56:57], v[84:85], v[92:93], v[66:67]
	v_fma_f64 v[54:55], v[82:83], v[88:89], -v[60:61]
	v_fma_f64 v[58:59], v[86:87], v[92:93], -v[72:73]
	v_fma_f64 v[52:53], v[80:81], v[88:89], v[138:139]
	s_waitcnt vmcnt(7)
	v_mul_f64 v[74:75], v[98:99], v[102:103]
	v_mul_f64 v[78:79], v[96:97], v[102:103]
	s_waitcnt vmcnt(6)
	v_mul_f64 v[64:65], v[46:47], v[106:107]
	v_mul_f64 v[66:67], v[44:45], v[106:107]
	v_fma_f64 v[60:61], v[96:97], v[100:101], v[74:75]
	v_fma_f64 v[62:63], v[98:99], v[100:101], -v[78:79]
	s_waitcnt vmcnt(3)
	v_mul_f64 v[68:69], v[110:111], v[118:119]
	v_mul_f64 v[70:71], v[108:109], v[118:119]
	s_waitcnt vmcnt(2)
	v_mul_f64 v[72:73], v[114:115], v[122:123]
	v_mul_f64 v[74:75], v[112:113], v[122:123]
	;; [unrolled: 3-line block ×3, first 2 shown]
	v_fma_f64 v[44:45], v[44:45], v[104:105], v[64:65]
	v_fma_f64 v[46:47], v[46:47], v[104:105], -v[66:67]
	v_fma_f64 v[64:65], v[108:109], v[116:117], v[68:69]
	v_fma_f64 v[66:67], v[110:111], v[116:117], -v[70:71]
	;; [unrolled: 2-line block ×4, first 2 shown]
	ds_write_b128 v244, v[48:51] offset:896
	ds_write_b128 v244, v[52:55] offset:1136
	;; [unrolled: 1-line block ×8, first 2 shown]
.LBB0_3:
	s_or_b64 exec, exec, s[2:3]
	s_waitcnt lgkmcnt(0)
	; wave barrier
	s_waitcnt lgkmcnt(0)
	ds_read_b128 v[124:127], v244
	ds_read_b128 v[128:131], v244 offset:240
	ds_read_b128 v[68:71], v244 offset:480
	;; [unrolled: 1-line block ×10, first 2 shown]
	s_load_dwordx2 s[2:3], s[4:5], 0x8
                                        ; implicit-def: $vgpr72_vgpr73
                                        ; implicit-def: $vgpr76_vgpr77
                                        ; implicit-def: $vgpr80_vgpr81
                                        ; implicit-def: $vgpr84_vgpr85
                                        ; implicit-def: $vgpr88_vgpr89
                                        ; implicit-def: $vgpr92_vgpr93
                                        ; implicit-def: $vgpr96_vgpr97
                                        ; implicit-def: $vgpr100_vgpr101
                                        ; implicit-def: $vgpr104_vgpr105
                                        ; implicit-def: $vgpr108_vgpr109
                                        ; implicit-def: $vgpr112_vgpr113
	s_and_saveexec_b64 s[0:1], vcc
	s_cbranch_execz .LBB0_5
; %bb.4:
	ds_read_b128 v[72:75], v244 offset:176
	ds_read_b128 v[76:79], v244 offset:416
	;; [unrolled: 1-line block ×11, first 2 shown]
.LBB0_5:
	s_or_b64 exec, exec, s[0:1]
	s_waitcnt lgkmcnt(0)
	v_add_f64 v[116:117], v[124:125], v[128:129]
	v_add_f64 v[118:119], v[126:127], v[130:131]
	;; [unrolled: 1-line block ×3, first 2 shown]
	v_add_f64 v[130:131], v[130:131], -v[134:135]
	s_mov_b32 s24, 0xf8bb580b
	s_mov_b32 s30, 0x8eee2c13
	;; [unrolled: 1-line block ×4, first 2 shown]
	v_add_f64 v[116:117], v[116:117], v[68:69]
	v_add_f64 v[118:119], v[118:119], v[70:71]
	s_mov_b32 s26, 0xfd768dbf
	s_mov_b32 s25, 0xbfe14ced
	;; [unrolled: 1-line block ×6, first 2 shown]
	v_add_f64 v[116:117], v[116:117], v[60:61]
	v_add_f64 v[118:119], v[118:119], v[62:63]
	;; [unrolled: 1-line block ×3, first 2 shown]
	v_add_f64 v[128:129], v[128:129], -v[132:133]
	v_mul_f64 v[144:145], v[130:131], s[30:31]
	v_mul_f64 v[152:153], v[130:131], s[18:19]
	;; [unrolled: 1-line block ×3, first 2 shown]
	v_add_co_u32_e64 v250, s[0:1], 11, v255
	v_add_f64 v[116:117], v[116:117], v[52:53]
	v_add_f64 v[118:119], v[118:119], v[54:55]
	s_mov_b32 s0, 0x8764f0ba
	s_mov_b32 s12, 0xd9c712b6
	;; [unrolled: 1-line block ×6, first 2 shown]
	v_add_f64 v[116:117], v[116:117], v[44:45]
	v_add_f64 v[118:119], v[118:119], v[46:47]
	s_mov_b32 s13, 0x3fda9628
	s_mov_b32 s17, 0xbfc2375f
	;; [unrolled: 1-line block ×4, first 2 shown]
	v_mul_f64 v[140:141], v[128:129], s[24:25]
	v_fma_f64 v[146:147], v[136:137], s[12:13], -v[144:145]
	v_add_f64 v[116:117], v[116:117], v[48:49]
	v_add_f64 v[118:119], v[118:119], v[50:51]
	v_mul_f64 v[148:149], v[128:129], s[30:31]
	v_fma_f64 v[144:145], v[136:137], s[12:13], v[144:145]
	v_fma_f64 v[154:155], v[136:137], s[16:17], -v[152:153]
	v_mul_f64 v[156:157], v[128:129], s[18:19]
	v_fma_f64 v[152:153], v[136:137], s[16:17], v[152:153]
	v_fma_f64 v[162:163], v[136:137], s[4:5], -v[160:161]
	v_add_f64 v[116:117], v[116:117], v[56:57]
	v_add_f64 v[118:119], v[118:119], v[58:59]
	v_mul_f64 v[164:165], v[128:129], s[22:23]
	v_fma_f64 v[160:161], v[136:137], s[4:5], v[160:161]
	v_mul_f64 v[128:129], v[128:129], s[26:27]
	v_fma_f64 v[142:143], v[138:139], s[0:1], v[140:141]
	v_fma_f64 v[140:141], v[138:139], s[0:1], -v[140:141]
	v_add_f64 v[146:147], v[124:125], v[146:147]
	v_add_f64 v[116:117], v[116:117], v[64:65]
	v_add_f64 v[118:119], v[118:119], v[66:67]
	v_fma_f64 v[150:151], v[138:139], s[12:13], v[148:149]
	v_add_f64 v[144:145], v[124:125], v[144:145]
	v_fma_f64 v[148:149], v[138:139], s[12:13], -v[148:149]
	v_add_f64 v[154:155], v[124:125], v[154:155]
	v_fma_f64 v[158:159], v[138:139], s[16:17], v[156:157]
	v_add_f64 v[152:153], v[124:125], v[152:153]
	v_add_f64 v[116:117], v[116:117], v[120:121]
	;; [unrolled: 1-line block ×3, first 2 shown]
	v_fma_f64 v[156:157], v[138:139], s[16:17], -v[156:157]
	v_add_f64 v[162:163], v[124:125], v[162:163]
	v_fma_f64 v[166:167], v[138:139], s[4:5], v[164:165]
	v_add_f64 v[160:161], v[124:125], v[160:161]
	v_fma_f64 v[164:165], v[138:139], s[4:5], -v[164:165]
	v_fma_f64 v[170:171], v[138:139], s[20:21], v[128:129]
	v_add_f64 v[116:117], v[116:117], v[132:133]
	v_mul_f64 v[132:133], v[130:131], s[24:25]
	v_mul_f64 v[130:131], v[130:131], s[26:27]
	v_add_f64 v[118:119], v[118:119], v[134:135]
	v_fma_f64 v[128:129], v[138:139], s[20:21], -v[128:129]
	v_add_f64 v[142:143], v[126:127], v[142:143]
	v_add_f64 v[140:141], v[126:127], v[140:141]
	;; [unrolled: 1-line block ×4, first 2 shown]
	v_fma_f64 v[134:135], v[136:137], s[0:1], -v[132:133]
	v_fma_f64 v[132:133], v[136:137], s[0:1], v[132:133]
	v_fma_f64 v[168:169], v[136:137], s[20:21], -v[130:131]
	v_fma_f64 v[130:131], v[136:137], s[20:21], v[130:131]
	v_add_f64 v[158:159], v[126:127], v[158:159]
	v_add_f64 v[156:157], v[126:127], v[156:157]
	;; [unrolled: 1-line block ×9, first 2 shown]
	v_add_f64 v[70:71], v[70:71], -v[122:123]
	v_add_f64 v[170:171], v[126:127], v[170:171]
	v_add_f64 v[126:127], v[126:127], v[128:129]
	;; [unrolled: 1-line block ×3, first 2 shown]
	v_add_f64 v[68:69], v[68:69], -v[120:121]
	s_mov_b32 s39, 0x3fd207e7
	s_mov_b32 s38, s26
	;; [unrolled: 1-line block ×3, first 2 shown]
	v_mul_f64 v[120:121], v[70:71], s[30:31]
	s_mov_b32 s36, s18
	s_mov_b32 s29, 0x3fe14ced
	;; [unrolled: 1-line block ×5, first 2 shown]
	v_add_f64 v[192:193], v[82:83], -v[110:111]
	v_add_f64 v[186:187], v[80:81], v[108:109]
	v_fma_f64 v[122:123], v[128:129], s[12:13], -v[120:121]
	v_fma_f64 v[120:121], v[128:129], s[12:13], v[120:121]
	v_add_f64 v[190:191], v[80:81], -v[108:109]
	v_add_f64 v[188:189], v[82:83], v[110:111]
	v_add_f64 v[213:214], v[86:87], -v[106:107]
	v_add_f64 v[204:205], v[84:85], v[104:105]
	v_mul_f64 v[174:175], v[192:193], s[30:31]
	v_add_f64 v[211:212], v[84:85], -v[104:105]
	v_add_f64 v[122:123], v[122:123], v[134:135]
	v_mul_f64 v[134:135], v[68:69], s[30:31]
	v_add_f64 v[120:121], v[120:121], v[132:133]
	v_mul_f64 v[176:177], v[190:191], s[30:31]
	v_mul_f64 v[182:183], v[190:191], s[22:23]
	;; [unrolled: 1-line block ×3, first 2 shown]
	v_fma_f64 v[180:181], v[186:187], s[12:13], v[174:175]
	v_add_f64 v[206:207], v[86:87], v[106:107]
	v_mul_f64 v[202:203], v[211:212], s[34:35]
	v_fma_f64 v[136:137], v[130:131], s[12:13], v[134:135]
	v_fma_f64 v[132:133], v[130:131], s[12:13], -v[134:135]
	v_mul_f64 v[134:135], v[70:71], s[22:23]
	v_add_f64 v[229:230], v[90:91], -v[102:103]
	v_add_f64 v[223:224], v[88:89], v[100:101]
	v_add_f64 v[227:228], v[88:89], -v[100:101]
	v_add_f64 v[225:226], v[90:91], v[102:103]
	;; [unrolled: 2-line block ×3, first 2 shown]
	v_add_f64 v[132:133], v[132:133], v[140:141]
	v_fma_f64 v[138:139], v[128:129], s[4:5], -v[134:135]
	v_mul_f64 v[140:141], v[68:69], s[22:23]
	v_fma_f64 v[134:135], v[128:129], s[4:5], v[134:135]
	v_mul_f64 v[221:222], v[227:228], s[24:25]
	v_add_f64 v[241:242], v[92:93], v[96:97]
	v_add_f64 v[253:254], v[92:93], -v[96:97]
	v_mul_f64 v[237:238], v[245:246], s[22:23]
	v_mul_f64 v[0:1], v[245:246], s[34:35]
	v_add_f64 v[138:139], v[138:139], v[146:147]
	v_fma_f64 v[142:143], v[130:131], s[4:5], v[140:141]
	v_add_f64 v[134:135], v[134:135], v[144:145]
	v_fma_f64 v[140:141], v[130:131], s[4:5], -v[140:141]
	v_mul_f64 v[144:145], v[70:71], s[38:39]
	v_mul_f64 v[239:240], v[253:254], s[22:23]
	v_mul_u32_u24_e32 v5, 11, v250
	v_fma_f64 v[2:3], v[241:242], s[12:13], -v[0:1]
	v_fma_f64 v[0:1], v[241:242], s[12:13], v[0:1]
	v_add_f64 v[142:143], v[142:143], v[150:151]
	v_add_f64 v[140:141], v[140:141], v[148:149]
	v_fma_f64 v[146:147], v[128:129], s[20:21], -v[144:145]
	v_mul_f64 v[148:149], v[68:69], s[38:39]
	v_fma_f64 v[144:145], v[128:129], s[20:21], v[144:145]
	; wave barrier
	v_add_f64 v[146:147], v[146:147], v[154:155]
	v_fma_f64 v[150:151], v[130:131], s[20:21], v[148:149]
	v_add_f64 v[144:145], v[144:145], v[152:153]
	v_fma_f64 v[148:149], v[130:131], s[20:21], -v[148:149]
	v_mul_f64 v[152:153], v[70:71], s[36:37]
	v_mul_f64 v[70:71], v[70:71], s[28:29]
	v_add_f64 v[150:151], v[150:151], v[158:159]
	v_add_f64 v[148:149], v[148:149], v[156:157]
	v_fma_f64 v[154:155], v[128:129], s[16:17], -v[152:153]
	v_mul_f64 v[156:157], v[68:69], s[36:37]
	v_mul_f64 v[68:69], v[68:69], s[28:29]
	v_fma_f64 v[152:153], v[128:129], s[16:17], v[152:153]
	v_add_f64 v[154:155], v[154:155], v[162:163]
	v_fma_f64 v[158:159], v[130:131], s[16:17], v[156:157]
	v_fma_f64 v[162:163], v[130:131], s[0:1], v[68:69]
	v_fma_f64 v[68:69], v[130:131], s[0:1], -v[68:69]
	v_add_f64 v[152:153], v[152:153], v[160:161]
	v_fma_f64 v[160:161], v[128:129], s[0:1], -v[70:71]
	v_fma_f64 v[70:71], v[128:129], s[0:1], v[70:71]
	v_fma_f64 v[156:157], v[130:131], s[16:17], -v[156:157]
	v_add_f64 v[158:159], v[158:159], v[166:167]
	v_add_f64 v[162:163], v[162:163], v[170:171]
	;; [unrolled: 1-line block ×4, first 2 shown]
	v_add_f64 v[62:63], v[62:63], -v[66:67]
	v_add_f64 v[70:71], v[70:71], v[124:125]
	v_add_f64 v[124:125], v[60:61], v[64:65]
	v_add_f64 v[60:61], v[60:61], -v[64:65]
	v_add_f64 v[156:157], v[156:157], v[164:165]
	v_add_f64 v[160:161], v[160:161], v[168:169]
	;; [unrolled: 1-line block ×4, first 2 shown]
	v_mul_f64 v[64:65], v[62:63], s[18:19]
	v_fma_f64 v[66:67], v[124:125], s[16:17], -v[64:65]
	v_fma_f64 v[64:65], v[124:125], s[16:17], v[64:65]
	v_add_f64 v[66:67], v[66:67], v[122:123]
	v_mul_f64 v[122:123], v[60:61], s[18:19]
	v_add_f64 v[64:65], v[64:65], v[120:121]
	v_fma_f64 v[128:129], v[126:127], s[16:17], v[122:123]
	v_fma_f64 v[120:121], v[126:127], s[16:17], -v[122:123]
	v_mul_f64 v[122:123], v[62:63], s[38:39]
	v_add_f64 v[128:129], v[128:129], v[136:137]
	v_add_f64 v[120:121], v[120:121], v[132:133]
	v_fma_f64 v[130:131], v[124:125], s[20:21], -v[122:123]
	v_fma_f64 v[122:123], v[124:125], s[20:21], v[122:123]
	v_mul_f64 v[132:133], v[60:61], s[38:39]
	v_add_f64 v[130:131], v[130:131], v[138:139]
	v_add_f64 v[122:123], v[122:123], v[134:135]
	v_mul_f64 v[134:135], v[62:63], s[34:35]
	v_fma_f64 v[136:137], v[126:127], s[20:21], v[132:133]
	v_fma_f64 v[132:133], v[126:127], s[20:21], -v[132:133]
	v_fma_f64 v[138:139], v[124:125], s[12:13], -v[134:135]
	v_fma_f64 v[134:135], v[124:125], s[12:13], v[134:135]
	v_add_f64 v[132:133], v[132:133], v[140:141]
	v_mul_f64 v[140:141], v[60:61], s[34:35]
	v_add_f64 v[136:137], v[136:137], v[142:143]
	v_add_f64 v[138:139], v[138:139], v[146:147]
	;; [unrolled: 1-line block ×3, first 2 shown]
	v_mul_f64 v[144:145], v[62:63], s[24:25]
	v_fma_f64 v[142:143], v[126:127], s[12:13], v[140:141]
	v_fma_f64 v[140:141], v[126:127], s[12:13], -v[140:141]
	v_mul_f64 v[62:63], v[62:63], s[22:23]
	v_fma_f64 v[146:147], v[124:125], s[0:1], -v[144:145]
	v_fma_f64 v[144:145], v[124:125], s[0:1], v[144:145]
	v_add_f64 v[140:141], v[140:141], v[148:149]
	v_mul_f64 v[148:149], v[60:61], s[24:25]
	v_mul_f64 v[60:61], v[60:61], s[22:23]
	v_add_f64 v[142:143], v[142:143], v[150:151]
	v_add_f64 v[146:147], v[146:147], v[154:155]
	;; [unrolled: 1-line block ×3, first 2 shown]
	v_fma_f64 v[152:153], v[124:125], s[4:5], -v[62:63]
	v_fma_f64 v[62:63], v[124:125], s[4:5], v[62:63]
	v_fma_f64 v[154:155], v[126:127], s[4:5], v[60:61]
	v_fma_f64 v[60:61], v[126:127], s[4:5], -v[60:61]
	v_fma_f64 v[150:151], v[126:127], s[0:1], v[148:149]
	v_fma_f64 v[148:149], v[126:127], s[0:1], -v[148:149]
	v_add_f64 v[152:153], v[152:153], v[160:161]
	v_add_f64 v[62:63], v[62:63], v[70:71]
	;; [unrolled: 1-line block ×3, first 2 shown]
	v_add_f64 v[54:55], v[54:55], -v[58:59]
	v_add_f64 v[60:61], v[60:61], v[68:69]
	v_add_f64 v[68:69], v[52:53], v[56:57]
	v_add_f64 v[52:53], v[52:53], -v[56:57]
	v_add_f64 v[148:149], v[148:149], v[156:157]
	v_add_f64 v[150:151], v[150:151], v[158:159]
	;; [unrolled: 1-line block ×3, first 2 shown]
	v_mul_f64 v[56:57], v[54:55], s[22:23]
	v_fma_f64 v[58:59], v[68:69], s[4:5], -v[56:57]
	v_fma_f64 v[56:57], v[68:69], s[4:5], v[56:57]
	v_add_f64 v[58:59], v[58:59], v[66:67]
	v_mul_f64 v[66:67], v[52:53], s[22:23]
	v_add_f64 v[56:57], v[56:57], v[64:65]
	v_fma_f64 v[124:125], v[70:71], s[4:5], v[66:67]
	v_fma_f64 v[64:65], v[70:71], s[4:5], -v[66:67]
	v_mul_f64 v[66:67], v[54:55], s[36:37]
	v_add_f64 v[126:127], v[124:125], v[128:129]
	v_add_f64 v[64:65], v[64:65], v[120:121]
	v_fma_f64 v[120:121], v[68:69], s[16:17], -v[66:67]
	v_fma_f64 v[66:67], v[68:69], s[16:17], v[66:67]
	v_add_f64 v[128:129], v[120:121], v[130:131]
	v_mul_f64 v[120:121], v[52:53], s[36:37]
	v_add_f64 v[66:67], v[66:67], v[122:123]
	v_fma_f64 v[124:125], v[70:71], s[16:17], v[120:121]
	v_fma_f64 v[120:121], v[70:71], s[16:17], -v[120:121]
	v_add_f64 v[130:131], v[124:125], v[136:137]
	v_add_f64 v[136:137], v[120:121], v[132:133]
	v_mul_f64 v[120:121], v[54:55], s[24:25]
	v_fma_f64 v[122:123], v[68:69], s[0:1], -v[120:121]
	v_fma_f64 v[120:121], v[68:69], s[0:1], v[120:121]
	v_add_f64 v[138:139], v[122:123], v[138:139]
	v_mul_f64 v[122:123], v[52:53], s[24:25]
	v_add_f64 v[156:157], v[120:121], v[134:135]
	v_fma_f64 v[120:121], v[70:71], s[0:1], -v[122:123]
	v_fma_f64 v[124:125], v[70:71], s[0:1], v[122:123]
	v_add_f64 v[158:159], v[120:121], v[140:141]
	v_mul_f64 v[120:121], v[54:55], s[26:27]
	v_mul_f64 v[54:55], v[54:55], s[34:35]
	v_add_f64 v[142:143], v[124:125], v[142:143]
	v_fma_f64 v[122:123], v[68:69], s[20:21], -v[120:121]
	v_fma_f64 v[120:121], v[68:69], s[20:21], v[120:121]
	v_add_f64 v[146:147], v[122:123], v[146:147]
	v_mul_f64 v[122:123], v[52:53], s[26:27]
	v_add_f64 v[160:161], v[120:121], v[144:145]
	v_mul_f64 v[52:53], v[52:53], s[34:35]
	v_fma_f64 v[120:121], v[70:71], s[20:21], -v[122:123]
	v_fma_f64 v[124:125], v[70:71], s[20:21], v[122:123]
	v_add_f64 v[162:163], v[120:121], v[148:149]
	v_fma_f64 v[120:121], v[68:69], s[12:13], -v[54:55]
	v_fma_f64 v[54:55], v[68:69], s[12:13], v[54:55]
	v_add_f64 v[150:151], v[124:125], v[150:151]
	v_add_f64 v[152:153], v[120:121], v[152:153]
	v_fma_f64 v[120:121], v[70:71], s[12:13], v[52:53]
	v_add_f64 v[54:55], v[54:55], v[62:63]
	v_fma_f64 v[52:53], v[70:71], s[12:13], -v[52:53]
	v_add_f64 v[62:63], v[46:47], v[50:51]
	v_add_f64 v[46:47], v[46:47], -v[50:51]
	v_add_f64 v[154:155], v[120:121], v[154:155]
	v_add_f64 v[52:53], v[52:53], v[60:61]
	;; [unrolled: 1-line block ×3, first 2 shown]
	v_add_f64 v[44:45], v[44:45], -v[48:49]
	v_mul_f64 v[48:49], v[46:47], s[26:27]
	v_fma_f64 v[50:51], v[60:61], s[20:21], -v[48:49]
	v_fma_f64 v[48:49], v[60:61], s[20:21], v[48:49]
	v_add_f64 v[124:125], v[50:51], v[58:59]
	v_mul_f64 v[50:51], v[44:45], s[26:27]
	v_add_f64 v[120:121], v[48:49], v[56:57]
	v_fma_f64 v[48:49], v[62:63], s[20:21], -v[50:51]
	v_fma_f64 v[58:59], v[62:63], s[20:21], v[50:51]
	v_add_f64 v[122:123], v[48:49], v[64:65]
	v_mul_f64 v[48:49], v[46:47], s[28:29]
	v_add_f64 v[126:127], v[58:59], v[126:127]
	;; [unrolled: 5-line block ×3, first 2 shown]
	v_fma_f64 v[56:57], v[62:63], s[0:1], v[50:51]
	v_fma_f64 v[48:49], v[62:63], s[0:1], -v[50:51]
	v_add_f64 v[134:135], v[56:57], v[130:131]
	v_add_f64 v[130:131], v[48:49], v[136:137]
	v_mul_f64 v[48:49], v[46:47], s[22:23]
	v_fma_f64 v[50:51], v[60:61], s[4:5], -v[48:49]
	v_fma_f64 v[48:49], v[60:61], s[4:5], v[48:49]
	v_add_f64 v[140:141], v[50:51], v[138:139]
	v_mul_f64 v[50:51], v[44:45], s[22:23]
	v_add_f64 v[136:137], v[48:49], v[156:157]
	v_fma_f64 v[48:49], v[62:63], s[4:5], -v[50:51]
	v_fma_f64 v[56:57], v[62:63], s[4:5], v[50:51]
	v_add_f64 v[138:139], v[48:49], v[158:159]
	v_mul_f64 v[48:49], v[46:47], s[34:35]
	v_add_f64 v[142:143], v[56:57], v[142:143]
	v_mul_f64 v[46:47], v[46:47], s[18:19]
	v_fma_f64 v[50:51], v[60:61], s[12:13], -v[48:49]
	v_fma_f64 v[48:49], v[60:61], s[12:13], v[48:49]
	v_add_f64 v[144:145], v[50:51], v[146:147]
	v_mul_f64 v[50:51], v[44:45], s[34:35]
	v_add_f64 v[148:149], v[48:49], v[160:161]
	v_mul_f64 v[44:45], v[44:45], s[18:19]
	v_fma_f64 v[56:57], v[62:63], s[12:13], v[50:51]
	v_fma_f64 v[48:49], v[62:63], s[12:13], -v[50:51]
	v_add_f64 v[146:147], v[56:57], v[150:151]
	v_add_f64 v[150:151], v[48:49], v[162:163]
	v_fma_f64 v[48:49], v[60:61], s[16:17], -v[46:47]
	v_fma_f64 v[46:47], v[60:61], s[16:17], v[46:47]
	v_add_f64 v[152:153], v[48:49], v[152:153]
	v_fma_f64 v[48:49], v[62:63], s[16:17], v[44:45]
	v_add_f64 v[156:157], v[46:47], v[54:55]
	v_fma_f64 v[44:45], v[62:63], s[16:17], -v[44:45]
	v_add_f64 v[46:47], v[78:79], -v[114:115]
	v_add_f64 v[154:155], v[48:49], v[154:155]
	v_add_f64 v[158:159], v[44:45], v[52:53]
	v_add_f64 v[44:45], v[76:77], -v[112:113]
	v_mul_f64 v[160:161], v[46:47], s[24:25]
	v_mul_f64 v[164:165], v[46:47], s[30:31]
	;; [unrolled: 1-line block ×6, first 2 shown]
	v_fma_f64 v[48:49], v[168:169], s[0:1], v[160:161]
	v_mul_f64 v[172:173], v[44:45], s[30:31]
	v_fma_f64 v[52:53], v[168:169], s[12:13], v[164:165]
	v_mul_f64 v[178:179], v[44:45], s[18:19]
	v_fma_f64 v[56:57], v[168:169], s[16:17], v[166:167]
	v_fma_f64 v[62:63], v[168:169], s[4:5], -v[60:61]
	v_mul_f64 v[64:65], v[44:45], s[22:23]
	v_fma_f64 v[50:51], v[170:171], s[0:1], -v[162:163]
	v_add_f64 v[48:49], v[72:73], v[48:49]
	v_fma_f64 v[54:55], v[170:171], s[12:13], -v[172:173]
	v_add_f64 v[52:53], v[72:73], v[52:53]
	;; [unrolled: 2-line block ×3, first 2 shown]
	v_add_f64 v[62:63], v[72:73], v[62:63]
	v_fma_f64 v[60:61], v[168:169], s[4:5], v[60:61]
	v_add_f64 v[50:51], v[74:75], v[50:51]
	v_add_f64 v[48:49], v[180:181], v[48:49]
	v_fma_f64 v[180:181], v[188:189], s[12:13], -v[176:177]
	v_add_f64 v[54:55], v[74:75], v[54:55]
	v_add_f64 v[58:59], v[74:75], v[58:59]
	v_fma_f64 v[66:67], v[170:171], s[4:5], v[64:65]
	v_fma_f64 v[64:65], v[170:171], s[4:5], -v[64:65]
	v_add_f64 v[60:61], v[72:73], v[60:61]
	v_fma_f64 v[68:69], v[168:169], s[20:21], -v[46:47]
	v_mul_f64 v[44:45], v[44:45], s[26:27]
	v_add_f64 v[50:51], v[180:181], v[50:51]
	v_mul_f64 v[180:181], v[192:193], s[22:23]
	v_fma_f64 v[46:47], v[168:169], s[20:21], v[46:47]
	v_add_f64 v[66:67], v[74:75], v[66:67]
	v_add_f64 v[64:65], v[74:75], v[64:65]
	;; [unrolled: 1-line block ×3, first 2 shown]
	v_fma_f64 v[70:71], v[170:171], s[20:21], v[44:45]
	v_fma_f64 v[44:45], v[170:171], s[20:21], -v[44:45]
	v_fma_f64 v[184:185], v[186:187], s[4:5], v[180:181]
	v_add_f64 v[46:47], v[72:73], v[46:47]
	v_add_f64 v[70:71], v[74:75], v[70:71]
	;; [unrolled: 1-line block ×4, first 2 shown]
	v_fma_f64 v[184:185], v[188:189], s[4:5], -v[182:183]
	v_add_f64 v[54:55], v[184:185], v[54:55]
	v_mul_f64 v[184:185], v[192:193], s[38:39]
	v_fma_f64 v[196:197], v[186:187], s[20:21], v[184:185]
	v_add_f64 v[56:57], v[196:197], v[56:57]
	v_fma_f64 v[196:197], v[188:189], s[20:21], -v[194:195]
	v_add_f64 v[58:59], v[196:197], v[58:59]
	v_mul_f64 v[196:197], v[192:193], s[36:37]
	v_mul_f64 v[192:193], v[192:193], s[28:29]
	v_fma_f64 v[198:199], v[186:187], s[16:17], -v[196:197]
	v_fma_f64 v[196:197], v[186:187], s[16:17], v[196:197]
	v_add_f64 v[62:63], v[198:199], v[62:63]
	v_mul_f64 v[198:199], v[190:191], s[36:37]
	v_add_f64 v[60:61], v[196:197], v[60:61]
	v_mul_f64 v[190:191], v[190:191], s[28:29]
	v_fma_f64 v[196:197], v[188:189], s[16:17], -v[198:199]
	v_fma_f64 v[200:201], v[188:189], s[16:17], v[198:199]
	v_mul_f64 v[198:199], v[211:212], s[38:39]
	v_add_f64 v[64:65], v[196:197], v[64:65]
	v_fma_f64 v[196:197], v[186:187], s[0:1], -v[192:193]
	v_fma_f64 v[192:193], v[186:187], s[0:1], v[192:193]
	v_add_f64 v[66:67], v[200:201], v[66:67]
	v_add_f64 v[68:69], v[196:197], v[68:69]
	v_fma_f64 v[196:197], v[188:189], s[0:1], v[190:191]
	v_fma_f64 v[190:191], v[188:189], s[0:1], -v[190:191]
	v_add_f64 v[46:47], v[192:193], v[46:47]
	v_mul_f64 v[192:193], v[211:212], s[18:19]
	v_add_f64 v[70:71], v[196:197], v[70:71]
	v_add_f64 v[44:45], v[190:191], v[44:45]
	v_mul_f64 v[190:191], v[213:214], s[18:19]
	v_fma_f64 v[196:197], v[204:205], s[16:17], v[190:191]
	v_add_f64 v[48:49], v[196:197], v[48:49]
	v_fma_f64 v[196:197], v[206:207], s[16:17], -v[192:193]
	v_add_f64 v[50:51], v[196:197], v[50:51]
	v_mul_f64 v[196:197], v[213:214], s[38:39]
	v_fma_f64 v[200:201], v[204:205], s[20:21], v[196:197]
	v_add_f64 v[52:53], v[200:201], v[52:53]
	v_fma_f64 v[200:201], v[206:207], s[20:21], -v[198:199]
	;; [unrolled: 5-line block ×3, first 2 shown]
	v_add_f64 v[58:59], v[215:216], v[58:59]
	v_mul_f64 v[215:216], v[213:214], s[24:25]
	v_mul_f64 v[213:214], v[213:214], s[22:23]
	v_fma_f64 v[217:218], v[204:205], s[0:1], -v[215:216]
	v_fma_f64 v[215:216], v[204:205], s[0:1], v[215:216]
	v_add_f64 v[62:63], v[217:218], v[62:63]
	v_mul_f64 v[217:218], v[211:212], s[24:25]
	v_add_f64 v[60:61], v[215:216], v[60:61]
	v_mul_f64 v[211:212], v[211:212], s[22:23]
	v_fma_f64 v[215:216], v[206:207], s[0:1], -v[217:218]
	v_fma_f64 v[219:220], v[206:207], s[0:1], v[217:218]
	v_mul_f64 v[217:218], v[227:228], s[36:37]
	v_add_f64 v[64:65], v[215:216], v[64:65]
	v_fma_f64 v[215:216], v[204:205], s[4:5], -v[213:214]
	v_fma_f64 v[213:214], v[204:205], s[4:5], v[213:214]
	v_add_f64 v[66:67], v[219:220], v[66:67]
	v_add_f64 v[68:69], v[215:216], v[68:69]
	v_fma_f64 v[215:216], v[206:207], s[4:5], v[211:212]
	v_fma_f64 v[211:212], v[206:207], s[4:5], -v[211:212]
	v_add_f64 v[46:47], v[213:214], v[46:47]
	v_mul_f64 v[213:214], v[227:228], s[22:23]
	v_add_f64 v[70:71], v[215:216], v[70:71]
	v_add_f64 v[44:45], v[211:212], v[44:45]
	v_mul_f64 v[211:212], v[229:230], s[22:23]
	v_fma_f64 v[215:216], v[223:224], s[4:5], v[211:212]
	v_add_f64 v[48:49], v[215:216], v[48:49]
	v_fma_f64 v[215:216], v[225:226], s[4:5], -v[213:214]
	v_add_f64 v[50:51], v[215:216], v[50:51]
	v_mul_f64 v[215:216], v[229:230], s[36:37]
	v_fma_f64 v[219:220], v[223:224], s[16:17], v[215:216]
	v_add_f64 v[52:53], v[219:220], v[52:53]
	v_fma_f64 v[219:220], v[225:226], s[16:17], -v[217:218]
	;; [unrolled: 5-line block ×3, first 2 shown]
	v_add_f64 v[58:59], v[231:232], v[58:59]
	v_mul_f64 v[231:232], v[229:230], s[26:27]
	v_mul_f64 v[229:230], v[229:230], s[34:35]
	v_fma_f64 v[233:234], v[223:224], s[20:21], -v[231:232]
	v_fma_f64 v[231:232], v[223:224], s[20:21], v[231:232]
	v_add_f64 v[62:63], v[233:234], v[62:63]
	v_mul_f64 v[233:234], v[227:228], s[26:27]
	v_add_f64 v[60:61], v[231:232], v[60:61]
	v_mul_f64 v[227:228], v[227:228], s[34:35]
	v_fma_f64 v[231:232], v[225:226], s[20:21], -v[233:234]
	v_fma_f64 v[235:236], v[225:226], s[20:21], v[233:234]
	v_mul_f64 v[233:234], v[245:246], s[28:29]
	v_add_f64 v[60:61], v[0:1], v[60:61]
	v_add_f64 v[64:65], v[231:232], v[64:65]
	v_fma_f64 v[231:232], v[223:224], s[12:13], -v[229:230]
	v_fma_f64 v[229:230], v[223:224], s[12:13], v[229:230]
	v_add_f64 v[66:67], v[235:236], v[66:67]
	v_mul_f64 v[235:236], v[253:254], s[28:29]
	v_add_f64 v[68:69], v[231:232], v[68:69]
	v_fma_f64 v[231:232], v[225:226], s[12:13], v[227:228]
	v_add_f64 v[248:249], v[229:230], v[46:47]
	v_fma_f64 v[46:47], v[225:226], s[12:13], -v[227:228]
	v_mul_f64 v[227:228], v[245:246], s[26:27]
	v_mul_f64 v[229:230], v[253:254], s[26:27]
	v_add_f64 v[70:71], v[231:232], v[70:71]
	v_add_f64 v[231:232], v[94:95], v[98:99]
	;; [unrolled: 1-line block ×3, first 2 shown]
	v_fma_f64 v[44:45], v[241:242], s[20:21], v[227:228]
	v_fma_f64 v[46:47], v[231:232], s[20:21], -v[229:230]
	v_add_f64 v[44:45], v[44:45], v[48:49]
	v_fma_f64 v[48:49], v[241:242], s[0:1], v[233:234]
	v_add_f64 v[46:47], v[46:47], v[50:51]
	v_fma_f64 v[50:51], v[231:232], s[0:1], -v[235:236]
	v_add_f64 v[48:49], v[48:49], v[52:53]
	v_fma_f64 v[52:53], v[241:242], s[4:5], v[237:238]
	v_add_f64 v[50:51], v[50:51], v[54:55]
	v_add_f64 v[56:57], v[52:53], v[56:57]
	v_fma_f64 v[52:53], v[231:232], s[4:5], -v[239:240]
	v_add_f64 v[58:59], v[52:53], v[58:59]
	v_add_f64 v[52:53], v[2:3], v[62:63]
	v_mul_f64 v[2:3], v[253:254], s[34:35]
	v_fma_f64 v[0:1], v[231:232], s[12:13], -v[2:3]
	v_fma_f64 v[54:55], v[231:232], s[12:13], v[2:3]
	v_add_f64 v[62:63], v[0:1], v[64:65]
	v_mul_f64 v[0:1], v[245:246], s[18:19]
	v_add_f64 v[54:55], v[54:55], v[66:67]
	v_fma_f64 v[2:3], v[241:242], s[16:17], -v[0:1]
	v_fma_f64 v[0:1], v[241:242], s[16:17], v[0:1]
	v_add_f64 v[64:65], v[2:3], v[68:69]
	v_mul_f64 v[2:3], v[253:254], s[18:19]
	v_add_f64 v[68:69], v[0:1], v[248:249]
	v_fma_f64 v[66:67], v[231:232], s[16:17], v[2:3]
	v_fma_f64 v[0:1], v[231:232], s[16:17], -v[2:3]
	v_add_f64 v[66:67], v[66:67], v[70:71]
	v_add_f64 v[70:71], v[0:1], v[251:252]
	v_mul_lo_u16_e32 v0, 11, v255
	v_lshl_add_u32 v249, v0, 4, v4
	ds_write_b128 v249, v[116:119]
	ds_write_b128 v249, v[124:127] offset:16
	ds_write_b128 v249, v[132:135] offset:32
	;; [unrolled: 1-line block ×10, first 2 shown]
	s_and_saveexec_b64 s[18:19], vcc
	s_cbranch_execz .LBB0_7
; %bb.6:
	v_add_f64 v[78:79], v[74:75], v[78:79]
	v_add_f64 v[76:77], v[72:73], v[76:77]
	v_mul_f64 v[118:119], v[170:171], s[12:13]
	v_mul_f64 v[122:123], v[170:171], s[16:17]
	;; [unrolled: 1-line block ×6, first 2 shown]
	v_add_f64 v[78:79], v[78:79], v[82:83]
	v_add_f64 v[76:77], v[76:77], v[80:81]
	v_mul_f64 v[130:131], v[188:189], s[4:5]
	v_mul_f64 v[134:135], v[188:189], s[20:21]
	v_add_f64 v[122:123], v[178:179], v[122:123]
	v_add_f64 v[118:119], v[172:173], v[118:119]
	v_mul_f64 v[124:125], v[186:187], s[12:13]
	v_mul_f64 v[126:127], v[188:189], s[12:13]
	v_add_f64 v[78:79], v[78:79], v[86:87]
	v_add_f64 v[76:77], v[76:77], v[84:85]
	;; [unrolled: 1-line block ×3, first 2 shown]
	v_add_f64 v[0:1], v[0:1], -v[160:161]
	v_mul_f64 v[128:129], v[186:187], s[4:5]
	v_add_f64 v[120:121], v[120:121], -v[166:167]
	v_mul_f64 v[132:133], v[186:187], s[20:21]
	v_mul_f64 v[142:143], v[206:207], s[20:21]
	v_add_f64 v[78:79], v[78:79], v[90:91]
	v_add_f64 v[76:77], v[76:77], v[88:89]
	v_mul_f64 v[146:147], v[206:207], s[12:13]
	v_add_f64 v[134:135], v[194:195], v[134:135]
	v_add_f64 v[122:123], v[74:75], v[122:123]
	;; [unrolled: 1-line block ×4, first 2 shown]
	v_mul_f64 v[136:137], v[204:205], s[16:17]
	v_add_f64 v[78:79], v[78:79], v[94:95]
	v_add_f64 v[76:77], v[76:77], v[92:93]
	v_add_f64 v[92:93], v[116:117], -v[164:165]
	v_mul_f64 v[138:139], v[206:207], s[16:17]
	v_add_f64 v[116:117], v[176:177], v[126:127]
	v_add_f64 v[2:3], v[74:75], v[2:3]
	v_add_f64 v[74:75], v[124:125], -v[174:175]
	v_add_f64 v[0:1], v[72:73], v[0:1]
	v_add_f64 v[78:79], v[78:79], v[98:99]
	;; [unrolled: 1-line block ×3, first 2 shown]
	v_mul_f64 v[140:141], v[204:205], s[20:21]
	v_add_f64 v[120:121], v[72:73], v[120:121]
	v_add_f64 v[94:95], v[128:129], -v[180:181]
	v_add_f64 v[72:73], v[72:73], v[92:93]
	v_mul_f64 v[144:145], v[204:205], s[12:13]
	v_add_f64 v[82:83], v[132:133], -v[184:185]
	v_mul_f64 v[154:155], v[225:226], s[16:17]
	v_mul_f64 v[158:159], v[225:226], s[0:1]
	v_add_f64 v[146:147], v[202:203], v[146:147]
	v_add_f64 v[122:123], v[134:135], v[122:123]
	v_add_f64 v[132:133], v[198:199], v[142:143]
	v_add_f64 v[118:119], v[130:131], v[118:119]
	v_add_f64 v[78:79], v[78:79], v[102:103]
	v_add_f64 v[76:77], v[76:77], v[100:101]
	v_mul_f64 v[148:149], v[223:224], s[4:5]
	v_mul_f64 v[150:151], v[225:226], s[4:5]
	v_add_f64 v[96:97], v[192:193], v[138:139]
	v_add_f64 v[2:3], v[116:117], v[2:3]
	v_add_f64 v[98:99], v[136:137], -v[190:191]
	v_add_f64 v[0:1], v[74:75], v[0:1]
	v_mul_f64 v[152:153], v[223:224], s[16:17]
	v_add_f64 v[92:93], v[140:141], -v[196:197]
	v_add_f64 v[72:73], v[94:95], v[72:73]
	v_mul_f64 v[156:157], v[223:224], s[0:1]
	;; [unrolled: 3-line block ×3, first 2 shown]
	v_mul_f64 v[172:173], v[231:232], s[4:5]
	v_add_f64 v[80:81], v[221:222], v[158:159]
	v_add_f64 v[122:123], v[146:147], v[122:123]
	;; [unrolled: 1-line block ×6, first 2 shown]
	v_mul_f64 v[168:169], v[241:242], s[20:21]
	v_mul_f64 v[170:171], v[231:232], s[20:21]
	v_add_f64 v[94:95], v[213:214], v[150:151]
	v_add_f64 v[2:3], v[96:97], v[2:3]
	v_add_f64 v[96:97], v[148:149], -v[211:212]
	v_add_f64 v[0:1], v[98:99], v[0:1]
	v_mul_f64 v[178:179], v[241:242], s[0:1]
	v_add_f64 v[74:75], v[152:153], -v[215:216]
	v_add_f64 v[72:73], v[92:93], v[72:73]
	v_mul_f64 v[188:189], v[241:242], s[4:5]
	v_add_f64 v[90:91], v[156:157], -v[219:220]
	v_add_f64 v[82:83], v[86:87], v[82:83]
	v_add_f64 v[84:85], v[239:240], v[172:173]
	;; [unrolled: 1-line block ×9, first 2 shown]
	v_add_f64 v[94:95], v[168:169], -v[227:228]
	v_add_f64 v[0:1], v[96:97], v[0:1]
	v_add_f64 v[92:93], v[178:179], -v[233:234]
	v_add_f64 v[72:73], v[74:75], v[72:73]
	;; [unrolled: 2-line block ×3, first 2 shown]
	v_add_f64 v[74:75], v[84:85], v[80:81]
	v_add_f64 v[78:79], v[86:87], v[118:119]
	;; [unrolled: 1-line block ×8, first 2 shown]
	v_lshl_add_u32 v0, v5, 4, v4
	ds_write_b128 v0, v[84:87]
	ds_write_b128 v0, v[80:83] offset:16
	ds_write_b128 v0, v[76:79] offset:32
	;; [unrolled: 1-line block ×10, first 2 shown]
.LBB0_7:
	s_or_b64 exec, exec, s[18:19]
	v_lshlrev_b32_e32 v0, 6, v255
	s_waitcnt lgkmcnt(0)
	; wave barrier
	s_waitcnt lgkmcnt(0)
	global_load_dwordx4 v[84:87], v0, s[2:3]
	global_load_dwordx4 v[80:83], v0, s[2:3] offset:16
	global_load_dwordx4 v[76:79], v0, s[2:3] offset:32
	;; [unrolled: 1-line block ×3, first 2 shown]
	v_add_co_u32_e64 v120, s[0:1], 22, v255
	s_movk_i32 s0, 0x75
	v_mul_lo_u16_sdwa v1, v120, s0 dst_sel:DWORD dst_unused:UNUSED_PAD src0_sel:BYTE_0 src1_sel:DWORD
	v_sub_u16_sdwa v2, v120, v1 dst_sel:DWORD dst_unused:UNUSED_PAD src0_sel:DWORD src1_sel:BYTE_1
	v_lshrrev_b16_e32 v2, 1, v2
	v_and_b32_e32 v2, 0x7f, v2
	v_add_u16_sdwa v1, v2, v1 dst_sel:DWORD dst_unused:UNUSED_PAD src0_sel:DWORD src1_sel:BYTE_1
	v_lshrrev_b16_e32 v1, 3, v1
	v_mul_lo_u16_e32 v1, 11, v1
	v_sub_u16_e32 v106, v120, v1
	v_lshlrev_b16_e32 v1, 2, v106
	v_and_b32_e32 v1, 0xfc, v1
	v_lshlrev_b32_e32 v1, 4, v1
	global_load_dwordx4 v[100:103], v1, s[2:3]
	global_load_dwordx4 v[96:99], v1, s[2:3] offset:16
	global_load_dwordx4 v[92:95], v1, s[2:3] offset:32
	;; [unrolled: 1-line block ×3, first 2 shown]
	ds_read_b128 v[107:110], v244
	ds_read_b128 v[111:114], v244 offset:176
	ds_read_b128 v[115:118], v244 offset:1056
	;; [unrolled: 1-line block ×14, first 2 shown]
	v_mov_b32_e32 v1, s3
	v_add_co_u32_e64 v104, s[0:1], s2, v0
	v_addc_co_u32_e64 v105, s[0:1], 0, v1, s[0:1]
	s_mov_b32 s12, 0x134454ff
	s_mov_b32 s13, 0x3fee6f0e
	;; [unrolled: 1-line block ×10, first 2 shown]
	v_lshlrev_b32_e32 v136, 5, v255
	s_waitcnt lgkmcnt(0)
	; wave barrier
	s_waitcnt lgkmcnt(0)
	v_lshl_add_u32 v211, v255, 4, v4
	s_waitcnt vmcnt(7)
	v_mul_f64 v[0:1], v[139:140], v[86:87]
	s_waitcnt vmcnt(6)
	v_mul_f64 v[133:134], v[117:118], v[82:83]
	;; [unrolled: 2-line block ×3, first 2 shown]
	v_mul_f64 v[2:3], v[137:138], v[86:87]
	v_mul_f64 v[173:174], v[115:116], v[82:83]
	s_waitcnt vmcnt(4)
	v_mul_f64 v[179:180], v[127:128], v[74:75]
	v_mul_f64 v[181:182], v[125:126], v[74:75]
	;; [unrolled: 1-line block ×5, first 2 shown]
	v_fma_f64 v[0:1], v[137:138], v[84:85], -v[0:1]
	v_fma_f64 v[115:116], v[115:116], v[80:81], -v[133:134]
	;; [unrolled: 1-line block ×3, first 2 shown]
	v_mul_f64 v[177:178], v[153:154], v[78:79]
	v_mul_f64 v[189:190], v[121:122], v[82:83]
	;; [unrolled: 1-line block ×3, first 2 shown]
	v_fma_f64 v[2:3], v[139:140], v[84:85], v[2:3]
	v_fma_f64 v[125:126], v[125:126], v[72:73], -v[179:180]
	v_fma_f64 v[127:128], v[127:128], v[72:73], v[181:182]
	v_fma_f64 v[139:140], v[145:146], v[84:85], -v[183:184]
	v_fma_f64 v[147:148], v[147:148], v[84:85], v[185:186]
	v_fma_f64 v[153:154], v[121:122], v[80:81], -v[187:188]
	s_waitcnt vmcnt(3)
	v_mul_f64 v[121:122], v[151:152], v[102:103]
	v_add_f64 v[183:184], v[107:108], v[0:1]
	v_add_f64 v[185:186], v[115:116], v[133:134]
	v_mul_f64 v[197:198], v[129:130], v[74:75]
	v_fma_f64 v[117:118], v[117:118], v[80:81], v[173:174]
	v_fma_f64 v[137:138], v[155:156], v[76:77], v[177:178]
	;; [unrolled: 1-line block ×3, first 2 shown]
	v_fma_f64 v[145:146], v[129:130], v[72:73], -v[195:196]
	v_mul_f64 v[123:124], v[149:150], v[102:103]
	v_add_f64 v[187:188], v[2:3], -v[127:128]
	v_add_f64 v[195:196], v[0:1], v[125:126]
	v_fma_f64 v[205:206], v[149:150], v[100:101], -v[121:122]
	v_add_f64 v[121:122], v[183:184], v[115:116]
	v_fma_f64 v[149:150], v[185:186], -0.5, v[107:108]
	v_mul_f64 v[191:192], v[163:164], v[78:79]
	v_mul_f64 v[193:194], v[161:162], v[78:79]
	v_fma_f64 v[173:174], v[131:132], v[72:73], v[197:198]
	s_waitcnt vmcnt(2)
	v_mul_f64 v[129:130], v[159:160], v[98:99]
	v_mul_f64 v[131:132], v[157:158], v[98:99]
	v_add_f64 v[189:190], v[117:118], -v[137:138]
	v_add_f64 v[201:202], v[109:110], v[2:3]
	v_add_f64 v[203:204], v[117:118], v[137:138]
	v_fma_f64 v[183:184], v[151:152], v[100:101], v[123:124]
	v_fma_f64 v[107:108], v[195:196], -0.5, v[107:108]
	v_add_f64 v[121:122], v[121:122], v[133:134]
	v_fma_f64 v[123:124], v[187:188], s[12:13], v[149:150]
	v_fma_f64 v[161:162], v[161:162], v[76:77], -v[191:192]
	v_fma_f64 v[163:164], v[163:164], v[76:77], v[193:194]
	s_waitcnt vmcnt(1)
	v_mul_f64 v[175:176], v[167:168], v[94:95]
	v_mul_f64 v[177:178], v[165:166], v[94:95]
	v_add_f64 v[191:192], v[0:1], -v[115:116]
	v_add_f64 v[193:194], v[125:126], -v[133:134]
	;; [unrolled: 1-line block ×4, first 2 shown]
	v_fma_f64 v[185:186], v[157:158], v[96:97], -v[129:130]
	v_fma_f64 v[159:160], v[159:160], v[96:97], v[131:132]
	v_fma_f64 v[131:132], v[187:188], s[16:17], v[149:150]
	;; [unrolled: 1-line block ×4, first 2 shown]
	v_add_f64 v[107:108], v[121:122], v[125:126]
	v_fma_f64 v[121:122], v[189:190], s[4:5], v[123:124]
	v_add_f64 v[123:124], v[201:202], v[117:118]
	v_fma_f64 v[157:158], v[203:204], -0.5, v[109:110]
	v_add_f64 v[0:1], v[0:1], -v[125:126]
	v_fma_f64 v[165:166], v[165:166], v[92:93], -v[175:176]
	v_fma_f64 v[167:168], v[167:168], v[92:93], v[177:178]
	v_add_f64 v[129:130], v[191:192], v[193:194]
	v_fma_f64 v[125:126], v[189:190], s[0:1], v[131:132]
	v_fma_f64 v[131:132], v[187:188], s[4:5], v[149:150]
	v_add_f64 v[149:150], v[197:198], v[199:200]
	v_add_f64 v[123:124], v[123:124], v[137:138]
	v_fma_f64 v[175:176], v[0:1], s[16:17], v[157:158]
	v_add_f64 v[177:178], v[2:3], v[127:128]
	v_add_f64 v[133:134], v[115:116], -v[133:134]
	s_waitcnt vmcnt(0)
	v_mul_f64 v[179:180], v[171:172], v[90:91]
	v_fma_f64 v[151:152], v[187:188], s[0:1], v[151:152]
	v_fma_f64 v[115:116], v[129:130], s[18:19], v[121:122]
	;; [unrolled: 1-line block ×4, first 2 shown]
	v_mul_f64 v[181:182], v[169:170], v[90:91]
	v_fma_f64 v[131:132], v[177:178], -0.5, v[109:110]
	v_add_f64 v[109:110], v[123:124], v[127:128]
	v_fma_f64 v[123:124], v[133:134], s[0:1], v[175:176]
	v_add_f64 v[175:176], v[111:112], v[139:140]
	v_fma_f64 v[169:170], v[169:170], v[88:89], -v[179:180]
	v_fma_f64 v[129:130], v[149:150], s[18:19], v[151:152]
	v_add_f64 v[149:150], v[2:3], -v[117:118]
	v_add_f64 v[151:152], v[127:128], -v[137:138]
	v_fma_f64 v[157:158], v[0:1], s[12:13], v[157:158]
	v_add_f64 v[177:178], v[153:154], v[161:162]
	v_fma_f64 v[179:180], v[133:134], s[12:13], v[131:132]
	v_add_f64 v[2:3], v[117:118], -v[2:3]
	v_add_f64 v[117:118], v[137:138], -v[127:128]
	v_fma_f64 v[127:128], v[133:134], s[16:17], v[131:132]
	v_add_f64 v[137:138], v[175:176], v[153:154]
	v_add_f64 v[131:132], v[149:150], v[151:152]
	v_fma_f64 v[133:134], v[133:134], s[4:5], v[157:158]
	v_fma_f64 v[149:150], v[177:178], -0.5, v[111:112]
	v_add_f64 v[151:152], v[147:148], -v[173:174]
	v_fma_f64 v[157:158], v[0:1], s[0:1], v[179:180]
	v_add_f64 v[2:3], v[2:3], v[117:118]
	v_fma_f64 v[0:1], v[0:1], s[4:5], v[127:128]
	v_add_f64 v[175:176], v[139:140], v[145:146]
	v_add_f64 v[137:138], v[137:138], v[161:162]
	v_fma_f64 v[117:118], v[131:132], s[18:19], v[123:124]
	v_fma_f64 v[123:124], v[131:132], s[18:19], v[133:134]
	;; [unrolled: 1-line block ×3, first 2 shown]
	v_add_f64 v[177:178], v[155:156], -v[163:164]
	v_fma_f64 v[127:128], v[2:3], s[18:19], v[157:158]
	v_fma_f64 v[131:132], v[2:3], s[18:19], v[0:1]
	v_fma_f64 v[0:1], v[175:176], -0.5, v[111:112]
	v_add_f64 v[111:112], v[137:138], v[145:146]
	v_add_f64 v[2:3], v[139:140], -v[153:154]
	v_add_f64 v[137:138], v[145:146], -v[161:162]
	v_fma_f64 v[171:172], v[171:172], v[88:89], v[181:182]
	v_fma_f64 v[149:150], v[151:152], s[16:17], v[149:150]
	;; [unrolled: 1-line block ×3, first 2 shown]
	v_add_f64 v[157:158], v[113:114], v[147:148]
	v_add_f64 v[175:176], v[155:156], v[163:164]
	v_fma_f64 v[179:180], v[177:178], s[16:17], v[0:1]
	v_add_f64 v[181:182], v[153:154], -v[139:140]
	v_add_f64 v[187:188], v[161:162], -v[145:146]
	v_add_f64 v[2:3], v[2:3], v[137:138]
	v_fma_f64 v[0:1], v[177:178], s[12:13], v[0:1]
	v_fma_f64 v[149:150], v[177:178], s[0:1], v[149:150]
	v_add_f64 v[157:158], v[157:158], v[155:156]
	v_fma_f64 v[175:176], v[175:176], -0.5, v[113:114]
	v_add_f64 v[139:140], v[139:140], -v[145:146]
	v_fma_f64 v[177:178], v[151:152], s[4:5], v[179:180]
	v_add_f64 v[179:180], v[181:182], v[187:188]
	v_fma_f64 v[137:138], v[2:3], s[18:19], v[133:134]
	v_fma_f64 v[0:1], v[151:152], s[0:1], v[0:1]
	v_add_f64 v[133:134], v[147:148], v[173:174]
	v_fma_f64 v[145:146], v[2:3], s[18:19], v[149:150]
	v_add_f64 v[2:3], v[157:158], v[163:164]
	v_fma_f64 v[151:152], v[139:140], s[16:17], v[175:176]
	v_add_f64 v[157:158], v[153:154], -v[161:162]
	v_fma_f64 v[149:150], v[179:180], s[18:19], v[177:178]
	v_add_f64 v[161:162], v[185:186], v[165:166]
	v_add_f64 v[177:178], v[147:148], -v[155:156]
	v_add_f64 v[181:182], v[173:174], -v[163:164]
	v_fma_f64 v[153:154], v[179:180], s[18:19], v[0:1]
	v_fma_f64 v[0:1], v[133:134], -0.5, v[113:114]
	v_add_f64 v[133:134], v[141:142], v[205:206]
	v_fma_f64 v[175:176], v[139:140], s[12:13], v[175:176]
	v_add_f64 v[113:114], v[2:3], v[173:174]
	v_fma_f64 v[2:3], v[157:158], s[0:1], v[151:152]
	v_fma_f64 v[161:162], v[161:162], -0.5, v[141:142]
	v_add_f64 v[179:180], v[183:184], -v[171:172]
	v_add_f64 v[151:152], v[177:178], v[181:182]
	v_fma_f64 v[177:178], v[157:158], s[12:13], v[0:1]
	v_add_f64 v[147:148], v[155:156], -v[147:148]
	v_add_f64 v[155:156], v[163:164], -v[173:174]
	v_fma_f64 v[0:1], v[157:158], s[16:17], v[0:1]
	v_add_f64 v[133:134], v[133:134], v[185:186]
	v_fma_f64 v[157:158], v[157:158], s[4:5], v[175:176]
	v_add_f64 v[175:176], v[205:206], v[169:170]
	v_fma_f64 v[163:164], v[179:180], s[12:13], v[161:162]
	v_add_f64 v[173:174], v[159:160], -v[167:168]
	v_add_f64 v[181:182], v[205:206], -v[185:186]
	v_add_f64 v[187:188], v[169:170], -v[165:166]
	v_fma_f64 v[177:178], v[139:140], s[0:1], v[177:178]
	v_add_f64 v[155:156], v[147:148], v[155:156]
	v_fma_f64 v[0:1], v[139:140], s[4:5], v[0:1]
	v_add_f64 v[133:134], v[133:134], v[165:166]
	v_fma_f64 v[139:140], v[151:152], s[18:19], v[2:3]
	v_fma_f64 v[2:3], v[175:176], -0.5, v[141:142]
	v_fma_f64 v[163:164], v[173:174], s[4:5], v[163:164]
	v_add_f64 v[181:182], v[181:182], v[187:188]
	v_fma_f64 v[147:148], v[151:152], s[18:19], v[157:158]
	v_fma_f64 v[151:152], v[155:156], s[18:19], v[177:178]
	;; [unrolled: 1-line block ×3, first 2 shown]
	v_add_f64 v[0:1], v[159:160], v[167:168]
	v_add_f64 v[141:142], v[133:134], v[169:170]
	v_fma_f64 v[133:134], v[179:180], s[16:17], v[161:162]
	v_fma_f64 v[161:162], v[173:174], s[16:17], v[2:3]
	v_add_f64 v[175:176], v[183:184], v[171:172]
	v_add_f64 v[187:188], v[143:144], v[183:184]
	v_fma_f64 v[157:158], v[181:182], s[18:19], v[163:164]
	v_add_f64 v[163:164], v[185:186], -v[205:206]
	v_add_f64 v[177:178], v[165:166], -v[169:170]
	v_fma_f64 v[0:1], v[0:1], -0.5, v[143:144]
	v_add_f64 v[169:170], v[205:206], -v[169:170]
	v_fma_f64 v[189:190], v[179:180], s[4:5], v[161:162]
	v_add_f64 v[161:162], v[185:186], -v[165:166]
	v_fma_f64 v[143:144], v[175:176], -0.5, v[143:144]
	v_add_f64 v[165:166], v[187:188], v[159:160]
	v_fma_f64 v[133:134], v[173:174], s[0:1], v[133:134]
	v_add_f64 v[163:164], v[163:164], v[177:178]
	v_fma_f64 v[2:3], v[173:174], s[12:13], v[2:3]
	v_fma_f64 v[173:174], v[169:170], s[16:17], v[0:1]
	v_add_f64 v[175:176], v[183:184], -v[159:160]
	v_add_f64 v[177:178], v[171:172], -v[167:168]
	v_fma_f64 v[185:186], v[161:162], s[12:13], v[143:144]
	v_add_f64 v[159:160], v[159:160], -v[183:184]
	v_add_f64 v[183:184], v[167:168], -v[171:172]
	v_fma_f64 v[143:144], v[161:162], s[16:17], v[143:144]
	v_fma_f64 v[0:1], v[169:170], s[12:13], v[0:1]
	v_add_f64 v[167:168], v[165:166], v[167:168]
	v_fma_f64 v[173:174], v[161:162], s[0:1], v[173:174]
	v_add_f64 v[175:176], v[175:176], v[177:178]
	v_fma_f64 v[2:3], v[179:180], s[0:1], v[2:3]
	v_fma_f64 v[177:178], v[169:170], s[0:1], v[185:186]
	v_add_f64 v[179:180], v[159:160], v[183:184]
	v_fma_f64 v[183:184], v[169:170], s[4:5], v[143:144]
	;; [unrolled: 3-line block ×3, first 2 shown]
	v_fma_f64 v[159:160], v[175:176], s[18:19], v[173:174]
	v_fma_f64 v[169:170], v[163:164], s[18:19], v[2:3]
	;; [unrolled: 1-line block ×6, first 2 shown]
	v_and_b32_e32 v0, 0xff, v106
	v_lshl_add_u32 v212, v0, 4, v4
	v_sub_co_u32_e64 v0, s[0:1], v104, v136
	v_subbrev_co_u32_e64 v1, s[0:1], 0, v105, s[0:1]
	ds_write_b128 v244, v[107:110]
	ds_write_b128 v244, v[115:118] offset:176
	ds_write_b128 v244, v[125:128] offset:352
	;; [unrolled: 1-line block ×14, first 2 shown]
	s_waitcnt lgkmcnt(0)
	; wave barrier
	s_waitcnt lgkmcnt(0)
	global_load_dwordx4 v[108:111], v[0:1], off offset:704
	global_load_dwordx4 v[104:107], v[0:1], off offset:720
	v_lshlrev_b32_e32 v0, 5, v250
	global_load_dwordx4 v[116:119], v0, s[2:3] offset:704
	global_load_dwordx4 v[112:115], v0, s[2:3] offset:720
	v_lshlrev_b32_e32 v0, 5, v120
	global_load_dwordx4 v[124:127], v0, s[2:3] offset:704
	global_load_dwordx4 v[120:123], v0, s[2:3] offset:720
	v_add_u32_e32 v0, 0x420, v136
	global_load_dwordx4 v[132:135], v0, s[2:3] offset:704
	global_load_dwordx4 v[128:131], v0, s[2:3] offset:720
	v_add_u32_e32 v0, 0x580, v136
	global_load_dwordx4 v[140:143], v0, s[2:3] offset:704
	global_load_dwordx4 v[136:139], v0, s[2:3] offset:720
	ds_read_b128 v[144:147], v244 offset:880
	ds_read_b128 v[148:151], v244
	ds_read_b128 v[152:155], v244 offset:176
	ds_read_b128 v[156:159], v244 offset:1760
	;; [unrolled: 1-line block ×13, first 2 shown]
	s_mov_b32 s0, 0xe8584caa
	s_mov_b32 s1, 0x3febb67a
	;; [unrolled: 1-line block ×4, first 2 shown]
	s_add_u32 s4, s14, 0xa50
	s_addc_u32 s5, s15, 0
	s_waitcnt vmcnt(9) lgkmcnt(14)
	v_mul_f64 v[0:1], v[146:147], v[110:111]
	v_mul_f64 v[2:3], v[144:145], v[110:111]
	s_waitcnt vmcnt(8) lgkmcnt(11)
	v_mul_f64 v[204:205], v[158:159], v[106:107]
	v_mul_f64 v[206:207], v[156:157], v[106:107]
	;; [unrolled: 3-line block ×3, first 2 shown]
	v_fma_f64 v[0:1], v[144:145], v[108:109], -v[0:1]
	v_fma_f64 v[2:3], v[146:147], v[108:109], v[2:3]
	s_waitcnt vmcnt(6)
	v_mul_f64 v[144:145], v[162:163], v[114:115]
	v_fma_f64 v[146:147], v[156:157], v[104:105], -v[204:205]
	v_fma_f64 v[156:157], v[158:159], v[104:105], v[206:207]
	v_fma_f64 v[158:159], v[164:165], v[116:117], -v[213:214]
	v_mul_f64 v[164:165], v[160:161], v[114:115]
	v_fma_f64 v[204:205], v[166:167], v[116:117], v[215:216]
	s_waitcnt vmcnt(5) lgkmcnt(8)
	v_mul_f64 v[166:167], v[170:171], v[126:127]
	v_mul_f64 v[206:207], v[168:169], v[126:127]
	v_fma_f64 v[144:145], v[160:161], v[112:113], -v[144:145]
	s_waitcnt vmcnt(4) lgkmcnt(5)
	v_mul_f64 v[160:161], v[182:183], v[122:123]
	v_mul_f64 v[213:214], v[180:181], v[122:123]
	s_waitcnt vmcnt(3) lgkmcnt(2)
	v_mul_f64 v[215:216], v[194:195], v[134:135]
	v_fma_f64 v[217:218], v[162:163], v[112:113], v[164:165]
	v_mul_f64 v[162:163], v[192:193], v[134:135]
	v_fma_f64 v[219:220], v[168:169], v[124:125], -v[166:167]
	s_waitcnt vmcnt(2)
	v_mul_f64 v[164:165], v[186:187], v[130:131]
	v_add_f64 v[166:167], v[0:1], v[146:147]
	v_fma_f64 v[221:222], v[180:181], v[120:121], -v[160:161]
	v_mul_f64 v[160:161], v[184:185], v[130:131]
	v_fma_f64 v[206:207], v[170:171], v[124:125], v[206:207]
	s_waitcnt vmcnt(0) lgkmcnt(0)
	v_mul_f64 v[168:169], v[202:203], v[138:139]
	v_fma_f64 v[223:224], v[194:195], v[132:133], v[162:163]
	v_mul_f64 v[162:163], v[198:199], v[142:143]
	v_fma_f64 v[225:226], v[184:185], v[128:129], -v[164:165]
	v_mul_f64 v[164:165], v[196:197], v[142:143]
	v_mul_f64 v[170:171], v[200:201], v[138:139]
	v_fma_f64 v[227:228], v[186:187], v[128:129], v[160:161]
	v_add_f64 v[160:161], v[148:149], v[0:1]
	v_fma_f64 v[148:149], v[166:167], -0.5, v[148:149]
	v_add_f64 v[166:167], v[2:3], v[156:157]
	v_fma_f64 v[229:230], v[196:197], v[140:141], -v[162:163]
	v_add_f64 v[162:163], v[2:3], -v[156:157]
	v_add_f64 v[2:3], v[150:151], v[2:3]
	v_fma_f64 v[213:214], v[182:183], v[120:121], v[213:214]
	v_fma_f64 v[231:232], v[198:199], v[140:141], v[164:165]
	v_fma_f64 v[233:234], v[200:201], v[136:137], -v[168:169]
	v_fma_f64 v[235:236], v[202:203], v[136:137], v[170:171]
	v_add_f64 v[160:161], v[160:161], v[146:147]
	v_add_f64 v[170:171], v[158:159], v[144:145]
	v_fma_f64 v[164:165], v[162:163], s[0:1], v[148:149]
	v_fma_f64 v[150:151], v[166:167], -0.5, v[150:151]
	v_add_f64 v[0:1], v[0:1], -v[146:147]
	v_fma_f64 v[168:169], v[162:163], s[2:3], v[148:149]
	v_add_f64 v[146:147], v[152:153], v[158:159]
	v_add_f64 v[162:163], v[2:3], v[156:157]
	;; [unrolled: 1-line block ×3, first 2 shown]
	v_fma_f64 v[215:216], v[192:193], v[132:133], -v[215:216]
	v_fma_f64 v[148:149], v[170:171], -0.5, v[152:153]
	v_add_f64 v[152:153], v[204:205], -v[217:218]
	v_fma_f64 v[166:167], v[0:1], s[2:3], v[150:151]
	v_fma_f64 v[170:171], v[0:1], s[0:1], v[150:151]
	v_add_f64 v[180:181], v[146:147], v[144:145]
	v_add_f64 v[0:1], v[219:220], v[221:222]
	v_fma_f64 v[2:3], v[2:3], -0.5, v[154:155]
	v_add_f64 v[144:145], v[158:159], -v[144:145]
	v_add_f64 v[146:147], v[206:207], v[213:214]
	v_fma_f64 v[184:185], v[152:153], s[0:1], v[148:149]
	v_fma_f64 v[192:193], v[152:153], s[2:3], v[148:149]
	v_add_f64 v[148:149], v[172:173], v[219:220]
	v_add_f64 v[150:151], v[206:207], -v[213:214]
	v_fma_f64 v[0:1], v[0:1], -0.5, v[172:173]
	v_add_f64 v[152:153], v[215:216], v[225:226]
	v_fma_f64 v[186:187], v[144:145], s[2:3], v[2:3]
	v_fma_f64 v[194:195], v[144:145], s[0:1], v[2:3]
	v_add_f64 v[2:3], v[174:175], v[206:207]
	v_fma_f64 v[144:145], v[146:147], -0.5, v[174:175]
	v_add_f64 v[146:147], v[219:220], -v[221:222]
	v_add_f64 v[156:157], v[154:155], v[204:205]
	v_add_f64 v[172:173], v[148:149], v[221:222]
	v_fma_f64 v[196:197], v[150:151], s[0:1], v[0:1]
	v_add_f64 v[148:149], v[176:177], v[215:216]
	v_fma_f64 v[152:153], v[152:153], -0.5, v[176:177]
	v_add_f64 v[154:155], v[223:224], -v[227:228]
	v_fma_f64 v[200:201], v[150:151], s[2:3], v[0:1]
	v_add_f64 v[174:175], v[2:3], v[213:214]
	v_fma_f64 v[198:199], v[146:147], s[2:3], v[144:145]
	v_add_f64 v[0:1], v[223:224], v[227:228]
	v_fma_f64 v[202:203], v[146:147], s[0:1], v[144:145]
	v_add_f64 v[2:3], v[229:230], v[233:234]
	v_add_f64 v[146:147], v[231:232], v[235:236]
	v_add_f64 v[176:177], v[148:149], v[225:226]
	v_fma_f64 v[204:205], v[154:155], s[0:1], v[152:153]
	v_fma_f64 v[144:145], v[154:155], s[2:3], v[152:153]
	v_add_f64 v[148:149], v[178:179], v[223:224]
	v_fma_f64 v[0:1], v[0:1], -0.5, v[178:179]
	v_add_f64 v[150:151], v[215:216], -v[225:226]
	v_add_f64 v[152:153], v[188:189], v[229:230]
	v_fma_f64 v[2:3], v[2:3], -0.5, v[188:189]
	v_add_f64 v[154:155], v[231:232], -v[235:236]
	;; [unrolled: 3-line block ×3, first 2 shown]
	v_add_f64 v[182:183], v[156:157], v[217:218]
	v_add_f64 v[178:179], v[148:149], v[227:228]
	v_fma_f64 v[206:207], v[150:151], s[2:3], v[0:1]
	v_fma_f64 v[146:147], v[150:151], s[0:1], v[0:1]
	v_add_f64 v[148:149], v[152:153], v[233:234]
	v_fma_f64 v[152:153], v[154:155], s[0:1], v[2:3]
	v_fma_f64 v[156:157], v[154:155], s[2:3], v[2:3]
	;; [unrolled: 3-line block ×3, first 2 shown]
	ds_write_b128 v244, v[160:163]
	ds_write_b128 v211, v[164:167] offset:880
	ds_write_b128 v211, v[168:171] offset:1760
	ds_write_b128 v211, v[180:183] offset:176
	ds_write_b128 v211, v[184:187] offset:1056
	ds_write_b128 v211, v[192:195] offset:1936
	ds_write_b128 v211, v[172:175] offset:352
	ds_write_b128 v244, v[196:199] offset:1232
	ds_write_b128 v244, v[200:203] offset:2112
	ds_write_b128 v211, v[176:179] offset:528
	ds_write_b128 v244, v[204:207] offset:1408
	ds_write_b128 v244, v[144:147] offset:2288
	ds_write_b128 v211, v[148:151] offset:704
	ds_write_b128 v244, v[152:155] offset:1584
	ds_write_b128 v244, v[156:159] offset:2464
	s_waitcnt lgkmcnt(0)
	; wave barrier
	s_waitcnt lgkmcnt(0)
	global_load_dwordx4 v[160:163], v[208:209], off offset:2640
	global_load_dwordx4 v[164:167], v247, s[4:5] offset:240
	global_load_dwordx4 v[168:171], v247, s[4:5] offset:480
	;; [unrolled: 1-line block ×10, first 2 shown]
	ds_read_b128 v[204:207], v244
	ds_read_b128 v[213:216], v244 offset:240
	ds_read_b128 v[217:220], v244 offset:480
	ds_read_b128 v[221:224], v244 offset:720
	s_waitcnt vmcnt(8) lgkmcnt(1)
	v_mul_f64 v[225:226], v[219:220], v[170:171]
	v_mul_f64 v[170:171], v[217:218], v[170:171]
	;; [unrolled: 1-line block ×6, first 2 shown]
	v_fma_f64 v[204:205], v[204:205], v[160:161], -v[0:1]
	v_fma_f64 v[206:207], v[206:207], v[160:161], v[2:3]
	v_fma_f64 v[160:161], v[213:214], v[164:165], -v[162:163]
	v_fma_f64 v[162:163], v[215:216], v[164:165], v[166:167]
	v_fma_f64 v[164:165], v[217:218], v[168:169], -v[225:226]
	v_fma_f64 v[166:167], v[219:220], v[168:169], v[170:171]
	ds_write_b128 v244, v[204:207]
	ds_write_b128 v244, v[160:163] offset:240
	ds_read_b128 v[160:163], v244 offset:960
	s_waitcnt vmcnt(7) lgkmcnt(3)
	v_mul_f64 v[0:1], v[223:224], v[174:175]
	ds_write_b128 v244, v[164:167] offset:480
	ds_read_b128 v[164:167], v244 offset:1200
	v_mul_f64 v[2:3], v[221:222], v[174:175]
	s_waitcnt vmcnt(6) lgkmcnt(2)
	v_mul_f64 v[174:175], v[162:163], v[178:179]
	v_mul_f64 v[178:179], v[160:161], v[178:179]
	ds_read_b128 v[168:171], v244 offset:1440
	ds_read_b128 v[204:207], v244 offset:1680
	s_waitcnt vmcnt(5) lgkmcnt(2)
	v_mul_f64 v[217:218], v[166:167], v[182:183]
	v_mul_f64 v[182:183], v[164:165], v[182:183]
	v_fma_f64 v[213:214], v[221:222], v[172:173], -v[0:1]
	s_waitcnt vmcnt(4) lgkmcnt(1)
	v_mul_f64 v[219:220], v[170:171], v[186:187]
	v_fma_f64 v[215:216], v[223:224], v[172:173], v[2:3]
	v_fma_f64 v[160:161], v[160:161], v[176:177], -v[174:175]
	ds_read_b128 v[172:175], v244 offset:1920
	v_fma_f64 v[162:163], v[162:163], v[176:177], v[178:179]
	ds_read_b128 v[176:179], v244 offset:2160
	v_fma_f64 v[164:165], v[164:165], v[180:181], -v[217:218]
	v_fma_f64 v[166:167], v[166:167], v[180:181], v[182:183]
	ds_read_b128 v[180:183], v244 offset:2400
	v_mul_f64 v[186:187], v[168:169], v[186:187]
	s_waitcnt vmcnt(3) lgkmcnt(3)
	v_mul_f64 v[0:1], v[206:207], v[190:191]
	v_mul_f64 v[2:3], v[204:205], v[190:191]
	s_waitcnt vmcnt(2) lgkmcnt(2)
	v_mul_f64 v[190:191], v[174:175], v[194:195]
	v_mul_f64 v[194:195], v[172:173], v[194:195]
	s_waitcnt vmcnt(1) lgkmcnt(1)
	v_mul_f64 v[217:218], v[178:179], v[198:199]
	v_mul_f64 v[198:199], v[176:177], v[198:199]
	v_fma_f64 v[168:169], v[168:169], v[184:185], -v[219:220]
	s_waitcnt vmcnt(0) lgkmcnt(0)
	v_mul_f64 v[219:220], v[182:183], v[202:203]
	v_mul_f64 v[202:203], v[180:181], v[202:203]
	v_fma_f64 v[170:171], v[170:171], v[184:185], v[186:187]
	v_fma_f64 v[184:185], v[204:205], v[188:189], -v[0:1]
	v_fma_f64 v[186:187], v[206:207], v[188:189], v[2:3]
	v_fma_f64 v[172:173], v[172:173], v[192:193], -v[190:191]
	;; [unrolled: 2-line block ×4, first 2 shown]
	v_fma_f64 v[182:183], v[182:183], v[200:201], v[202:203]
	ds_write_b128 v244, v[213:216] offset:720
	ds_write_b128 v244, v[160:163] offset:960
	;; [unrolled: 1-line block ×8, first 2 shown]
	s_and_saveexec_b64 s[2:3], vcc
	s_cbranch_execz .LBB0_9
; %bb.8:
	v_add_co_u32_e64 v0, s[0:1], s4, v247
	v_mov_b32_e32 v1, s5
	v_addc_co_u32_e64 v1, s[0:1], 0, v1, s[0:1]
	global_load_dwordx4 v[164:167], v[0:1], off offset:176
	ds_read_b128 v[160:163], v211 offset:176
	s_waitcnt vmcnt(0) lgkmcnt(0)
	v_mul_f64 v[2:3], v[162:163], v[166:167]
	v_fma_f64 v[168:169], v[160:161], v[164:165], -v[2:3]
	v_mul_f64 v[2:3], v[160:161], v[166:167]
	v_fma_f64 v[170:171], v[162:163], v[164:165], v[2:3]
	global_load_dwordx4 v[164:167], v[0:1], off offset:416
	ds_read_b128 v[160:163], v211 offset:416
	ds_write_b128 v211, v[168:171] offset:176
	s_waitcnt vmcnt(0) lgkmcnt(1)
	v_mul_f64 v[2:3], v[162:163], v[166:167]
	v_fma_f64 v[168:169], v[160:161], v[164:165], -v[2:3]
	v_mul_f64 v[2:3], v[160:161], v[166:167]
	v_fma_f64 v[170:171], v[162:163], v[164:165], v[2:3]
	global_load_dwordx4 v[164:167], v[0:1], off offset:656
	ds_read_b128 v[160:163], v211 offset:656
	ds_write_b128 v211, v[168:171] offset:416
	;; [unrolled: 8-line block ×10, first 2 shown]
	s_waitcnt vmcnt(0) lgkmcnt(1)
	v_mul_f64 v[0:1], v[162:163], v[166:167]
	v_fma_f64 v[168:169], v[160:161], v[164:165], -v[0:1]
	v_mul_f64 v[0:1], v[160:161], v[166:167]
	v_fma_f64 v[170:171], v[162:163], v[164:165], v[0:1]
	ds_write_b128 v211, v[168:171] offset:2576
.LBB0_9:
	s_or_b64 exec, exec, s[2:3]
	s_waitcnt lgkmcnt(0)
	; wave barrier
	s_waitcnt lgkmcnt(0)
	ds_read_b128 v[196:199], v244
	ds_read_b128 v[200:203], v244 offset:240
	ds_read_b128 v[188:191], v244 offset:480
	;; [unrolled: 1-line block ×10, first 2 shown]
	s_and_saveexec_b64 s[0:1], vcc
	s_cbranch_execz .LBB0_11
; %bb.10:
	ds_read_b128 v[144:147], v211 offset:176
	ds_read_b128 v[148:151], v211 offset:416
	;; [unrolled: 1-line block ×11, first 2 shown]
.LBB0_11:
	s_or_b64 exec, exec, s[0:1]
	s_waitcnt lgkmcnt(9)
	v_add_f64 v[2:3], v[198:199], v[202:203]
	v_add_f64 v[0:1], v[196:197], v[200:201]
	s_mov_b32 s2, 0x8764f0ba
	s_mov_b32 s4, 0xd9c712b6
	s_mov_b32 s14, 0x640f44db
	s_mov_b32 s18, 0x7f775887
	s_mov_b32 s24, 0x9bcd5057
	s_mov_b32 s3, 0x3feaeb8c
	s_waitcnt lgkmcnt(8)
	v_add_f64 v[2:3], v[2:3], v[190:191]
	v_add_f64 v[0:1], v[0:1], v[188:189]
	s_mov_b32 s5, 0x3fda9628
	s_mov_b32 s15, 0xbfc2375f
	s_mov_b32 s19, 0xbfe4f49e
	s_mov_b32 s25, 0xbfeeb42a
	s_mov_b32 s0, 0xf8bb580b
	s_mov_b32 s12, 0x8eee2c13
	;; [unrolled: 9-line block ×5, first 2 shown]
	s_waitcnt lgkmcnt(4)
	v_add_f64 v[2:3], v[2:3], v[166:167]
	v_add_f64 v[0:1], v[0:1], v[164:165]
	v_add_u32_e32 v8, 0x160, v244
	v_add_u32_e32 v12, 0x210, v244
	;; [unrolled: 1-line block ×3, first 2 shown]
	s_waitcnt lgkmcnt(0)
	; wave barrier
	s_waitcnt lgkmcnt(0)
	v_add_f64 v[2:3], v[2:3], v[178:179]
	v_add_f64 v[0:1], v[0:1], v[176:177]
	;; [unrolled: 1-line block ×10, first 2 shown]
	v_add_f64 v[200:201], v[200:201], -v[204:205]
	v_add_f64 v[202:203], v[202:203], -v[206:207]
	v_mul_f64 v[216:217], v[2:3], s[2:3]
	v_mul_f64 v[224:225], v[2:3], s[4:5]
	;; [unrolled: 1-line block ×8, first 2 shown]
	v_fma_f64 v[218:219], v[200:201], s[22:23], v[216:217]
	v_fma_f64 v[216:217], v[200:201], s[0:1], v[216:217]
	;; [unrolled: 1-line block ×6, first 2 shown]
	v_mul_f64 v[236:237], v[202:203], s[20:21]
	v_fma_f64 v[245:246], v[200:201], s[36:37], v[240:241]
	v_fma_f64 v[240:241], v[200:201], s[20:21], v[240:241]
	v_mul_f64 v[202:203], v[202:203], s[28:29]
	v_fma_f64 v[252:253], v[200:201], s[34:35], v[2:3]
	v_fma_f64 v[2:3], v[200:201], s[28:29], v[2:3]
	;; [unrolled: 1-line block ×3, first 2 shown]
	v_add_f64 v[218:219], v[198:199], v[218:219]
	v_fma_f64 v[204:205], v[0:1], s[2:3], -v[204:205]
	v_add_f64 v[216:217], v[198:199], v[216:217]
	v_fma_f64 v[222:223], v[0:1], s[4:5], v[220:221]
	v_add_f64 v[226:227], v[198:199], v[226:227]
	v_fma_f64 v[220:221], v[0:1], s[4:5], -v[220:221]
	v_add_f64 v[224:225], v[198:199], v[224:225]
	v_fma_f64 v[230:231], v[0:1], s[14:15], v[228:229]
	;; [unrolled: 4-line block ×4, first 2 shown]
	v_add_f64 v[252:253], v[198:199], v[252:253]
	v_fma_f64 v[0:1], v[0:1], s[24:25], -v[202:203]
	v_add_f64 v[2:3], v[198:199], v[2:3]
	v_add_f64 v[198:199], v[190:191], v[194:195]
	v_add_f64 v[190:191], v[190:191], -v[194:195]
	v_add_f64 v[206:207], v[196:197], v[206:207]
	v_add_f64 v[204:205], v[196:197], v[204:205]
	;; [unrolled: 1-line block ×11, first 2 shown]
	v_add_f64 v[188:189], v[188:189], -v[192:193]
	v_mul_f64 v[192:193], v[190:191], s[12:13]
	v_mul_f64 v[200:201], v[198:199], s[4:5]
	v_fma_f64 v[194:195], v[196:197], s[4:5], v[192:193]
	v_fma_f64 v[192:193], v[196:197], s[4:5], -v[192:193]
	v_fma_f64 v[202:203], v[188:189], s[30:31], v[200:201]
	v_fma_f64 v[200:201], v[188:189], s[12:13], v[200:201]
	v_add_f64 v[194:195], v[194:195], v[206:207]
	v_add_f64 v[192:193], v[192:193], v[204:205]
	v_mul_f64 v[204:205], v[190:191], s[20:21]
	v_add_f64 v[200:201], v[200:201], v[216:217]
	v_mul_f64 v[216:217], v[198:199], s[18:19]
	v_add_f64 v[202:203], v[202:203], v[218:219]
	v_fma_f64 v[206:207], v[196:197], s[18:19], v[204:205]
	v_fma_f64 v[204:205], v[196:197], s[18:19], -v[204:205]
	v_fma_f64 v[218:219], v[188:189], s[36:37], v[216:217]
	v_fma_f64 v[216:217], v[188:189], s[20:21], v[216:217]
	v_add_f64 v[206:207], v[206:207], v[222:223]
	v_add_f64 v[204:205], v[204:205], v[220:221]
	v_mul_f64 v[220:221], v[190:191], s[34:35]
	v_add_f64 v[216:217], v[216:217], v[224:225]
	v_mul_f64 v[224:225], v[198:199], s[24:25]
	v_add_f64 v[218:219], v[218:219], v[226:227]
	v_fma_f64 v[222:223], v[196:197], s[24:25], v[220:221]
	v_fma_f64 v[220:221], v[196:197], s[24:25], -v[220:221]
	v_fma_f64 v[226:227], v[188:189], s[28:29], v[224:225]
	v_fma_f64 v[224:225], v[188:189], s[34:35], v[224:225]
	v_add_f64 v[222:223], v[222:223], v[230:231]
	v_add_f64 v[220:221], v[220:221], v[228:229]
	v_mul_f64 v[228:229], v[190:191], s[26:27]
	v_mul_f64 v[190:191], v[190:191], s[22:23]
	v_add_f64 v[224:225], v[224:225], v[232:233]
	v_mul_f64 v[232:233], v[198:199], s[14:15]
	v_mul_f64 v[198:199], v[198:199], s[2:3]
	v_add_f64 v[226:227], v[226:227], v[234:235]
	v_fma_f64 v[230:231], v[196:197], s[14:15], v[228:229]
	v_fma_f64 v[228:229], v[196:197], s[14:15], -v[228:229]
	v_fma_f64 v[234:235], v[188:189], s[16:17], v[232:233]
	v_fma_f64 v[232:233], v[188:189], s[26:27], v[232:233]
	v_add_f64 v[230:231], v[230:231], v[238:239]
	v_add_f64 v[228:229], v[228:229], v[236:237]
	v_fma_f64 v[236:237], v[196:197], s[2:3], v[190:191]
	v_fma_f64 v[190:191], v[196:197], s[2:3], -v[190:191]
	v_fma_f64 v[238:239], v[188:189], s[0:1], v[198:199]
	v_fma_f64 v[188:189], v[188:189], s[22:23], v[198:199]
	v_add_f64 v[232:233], v[232:233], v[240:241]
	v_add_f64 v[234:235], v[234:235], v[245:246]
	;; [unrolled: 1-line block ×5, first 2 shown]
	v_add_f64 v[182:183], v[182:183], -v[186:187]
	v_add_f64 v[2:3], v[188:189], v[2:3]
	v_add_f64 v[188:189], v[180:181], v[184:185]
	v_add_f64 v[180:181], v[180:181], -v[184:185]
	v_add_f64 v[238:239], v[238:239], v[252:253]
	v_mul_f64 v[184:185], v[182:183], s[16:17]
	v_fma_f64 v[186:187], v[188:189], s[14:15], v[184:185]
	v_fma_f64 v[184:185], v[188:189], s[14:15], -v[184:185]
	v_add_f64 v[186:187], v[186:187], v[194:195]
	v_mul_f64 v[194:195], v[190:191], s[14:15]
	v_add_f64 v[184:185], v[184:185], v[192:193]
	v_fma_f64 v[196:197], v[180:181], s[26:27], v[194:195]
	v_fma_f64 v[192:193], v[180:181], s[16:17], v[194:195]
	v_mul_f64 v[194:195], v[182:183], s[34:35]
	v_add_f64 v[196:197], v[196:197], v[202:203]
	v_add_f64 v[192:193], v[192:193], v[200:201]
	v_fma_f64 v[198:199], v[188:189], s[24:25], v[194:195]
	v_fma_f64 v[194:195], v[188:189], s[24:25], -v[194:195]
	v_mul_f64 v[200:201], v[190:191], s[24:25]
	v_add_f64 v[198:199], v[198:199], v[206:207]
	v_add_f64 v[194:195], v[194:195], v[204:205]
	v_mul_f64 v[204:205], v[182:183], s[30:31]
	v_fma_f64 v[202:203], v[180:181], s[28:29], v[200:201]
	v_fma_f64 v[200:201], v[180:181], s[34:35], v[200:201]
	;; [unrolled: 1-line block ×3, first 2 shown]
	v_fma_f64 v[204:205], v[188:189], s[4:5], -v[204:205]
	v_add_f64 v[200:201], v[200:201], v[216:217]
	v_mul_f64 v[216:217], v[190:191], s[4:5]
	v_add_f64 v[202:203], v[202:203], v[218:219]
	v_add_f64 v[206:207], v[206:207], v[222:223]
	;; [unrolled: 1-line block ×3, first 2 shown]
	v_mul_f64 v[220:221], v[182:183], s[0:1]
	v_fma_f64 v[218:219], v[180:181], s[12:13], v[216:217]
	v_fma_f64 v[216:217], v[180:181], s[30:31], v[216:217]
	v_mul_f64 v[182:183], v[182:183], s[20:21]
	v_fma_f64 v[222:223], v[188:189], s[2:3], v[220:221]
	v_fma_f64 v[220:221], v[188:189], s[2:3], -v[220:221]
	v_add_f64 v[216:217], v[216:217], v[224:225]
	v_mul_f64 v[224:225], v[190:191], s[2:3]
	v_mul_f64 v[190:191], v[190:191], s[18:19]
	v_add_f64 v[218:219], v[218:219], v[226:227]
	v_add_f64 v[222:223], v[222:223], v[230:231]
	;; [unrolled: 1-line block ×3, first 2 shown]
	v_fma_f64 v[228:229], v[188:189], s[18:19], v[182:183]
	v_fma_f64 v[182:183], v[188:189], s[18:19], -v[182:183]
	v_fma_f64 v[226:227], v[180:181], s[22:23], v[224:225]
	v_fma_f64 v[224:225], v[180:181], s[0:1], v[224:225]
	;; [unrolled: 1-line block ×4, first 2 shown]
	v_add_f64 v[228:229], v[228:229], v[236:237]
	v_add_f64 v[0:1], v[182:183], v[0:1]
	;; [unrolled: 1-line block ×3, first 2 shown]
	v_add_f64 v[174:175], v[174:175], -v[178:179]
	v_add_f64 v[230:231], v[230:231], v[238:239]
	v_add_f64 v[2:3], v[180:181], v[2:3]
	;; [unrolled: 1-line block ×3, first 2 shown]
	v_add_f64 v[172:173], v[172:173], -v[176:177]
	v_add_f64 v[224:225], v[224:225], v[232:233]
	v_add_f64 v[226:227], v[226:227], v[234:235]
	v_mul_f64 v[176:177], v[174:175], s[20:21]
	v_fma_f64 v[178:179], v[180:181], s[18:19], v[176:177]
	v_fma_f64 v[176:177], v[180:181], s[18:19], -v[176:177]
	v_add_f64 v[178:179], v[178:179], v[186:187]
	v_mul_f64 v[186:187], v[182:183], s[18:19]
	v_add_f64 v[176:177], v[176:177], v[184:185]
	v_fma_f64 v[188:189], v[172:173], s[36:37], v[186:187]
	v_fma_f64 v[184:185], v[172:173], s[20:21], v[186:187]
	v_mul_f64 v[186:187], v[174:175], s[26:27]
	v_add_f64 v[188:189], v[188:189], v[196:197]
	v_add_f64 v[184:185], v[184:185], v[192:193]
	v_fma_f64 v[190:191], v[180:181], s[14:15], v[186:187]
	v_mul_f64 v[192:193], v[182:183], s[14:15]
	v_fma_f64 v[186:187], v[180:181], s[14:15], -v[186:187]
	v_add_f64 v[190:191], v[190:191], v[198:199]
	v_fma_f64 v[196:197], v[172:173], s[16:17], v[192:193]
	v_add_f64 v[186:187], v[186:187], v[194:195]
	v_fma_f64 v[192:193], v[172:173], s[26:27], v[192:193]
	v_mul_f64 v[194:195], v[174:175], s[0:1]
	v_add_f64 v[196:197], v[196:197], v[202:203]
	v_add_f64 v[192:193], v[192:193], v[200:201]
	v_fma_f64 v[198:199], v[180:181], s[2:3], v[194:195]
	v_mul_f64 v[200:201], v[182:183], s[2:3]
	v_fma_f64 v[194:195], v[180:181], s[2:3], -v[194:195]
	v_add_f64 v[198:199], v[198:199], v[206:207]
	v_fma_f64 v[202:203], v[172:173], s[22:23], v[200:201]
	v_add_f64 v[194:195], v[194:195], v[204:205]
	v_fma_f64 v[200:201], v[172:173], s[0:1], v[200:201]
	v_mul_f64 v[204:205], v[174:175], s[28:29]
	v_mul_f64 v[174:175], v[174:175], s[30:31]
	v_add_f64 v[202:203], v[202:203], v[218:219]
	v_add_f64 v[200:201], v[200:201], v[216:217]
	v_fma_f64 v[206:207], v[180:181], s[24:25], v[204:205]
	v_mul_f64 v[216:217], v[182:183], s[24:25]
	v_mul_f64 v[182:183], v[182:183], s[4:5]
	v_fma_f64 v[204:205], v[180:181], s[24:25], -v[204:205]
	v_add_f64 v[206:207], v[206:207], v[222:223]
	v_fma_f64 v[218:219], v[172:173], s[34:35], v[216:217]
	v_fma_f64 v[222:223], v[172:173], s[12:13], v[182:183]
	v_add_f64 v[204:205], v[204:205], v[220:221]
	v_fma_f64 v[216:217], v[172:173], s[28:29], v[216:217]
	v_fma_f64 v[220:221], v[180:181], s[4:5], v[174:175]
	;; [unrolled: 1-line block ×3, first 2 shown]
	v_fma_f64 v[174:175], v[180:181], s[4:5], -v[174:175]
	v_add_f64 v[218:219], v[218:219], v[226:227]
	v_add_f64 v[222:223], v[222:223], v[230:231]
	v_add_f64 v[230:231], v[162:163], -v[166:167]
	v_add_f64 v[216:217], v[216:217], v[224:225]
	v_add_f64 v[220:221], v[220:221], v[228:229]
	v_add_f64 v[224:225], v[160:161], v[164:165]
	v_add_f64 v[228:229], v[160:161], -v[164:165]
	v_add_f64 v[226:227], v[162:163], v[166:167]
	v_add_f64 v[2:3], v[172:173], v[2:3]
	;; [unrolled: 1-line block ×3, first 2 shown]
	v_mul_f64 v[164:165], v[230:231], s[28:29]
	v_mul_f64 v[166:167], v[226:227], s[24:25]
	v_fma_f64 v[160:161], v[224:225], s[24:25], v[164:165]
	v_fma_f64 v[164:165], v[224:225], s[24:25], -v[164:165]
	v_fma_f64 v[162:163], v[228:229], s[34:35], v[166:167]
	v_fma_f64 v[166:167], v[228:229], s[28:29], v[166:167]
	v_add_f64 v[160:161], v[160:161], v[178:179]
	v_add_f64 v[164:165], v[164:165], v[176:177]
	v_mul_f64 v[176:177], v[230:231], s[22:23]
	v_mul_f64 v[178:179], v[226:227], s[2:3]
	v_add_f64 v[162:163], v[162:163], v[188:189]
	v_add_f64 v[166:167], v[166:167], v[184:185]
	v_mul_f64 v[184:185], v[230:231], s[20:21]
	v_fma_f64 v[172:173], v[224:225], s[2:3], v[176:177]
	v_fma_f64 v[176:177], v[224:225], s[2:3], -v[176:177]
	v_fma_f64 v[174:175], v[228:229], s[0:1], v[178:179]
	v_fma_f64 v[178:179], v[228:229], s[22:23], v[178:179]
	;; [unrolled: 1-line block ×3, first 2 shown]
	v_fma_f64 v[184:185], v[224:225], s[18:19], -v[184:185]
	v_add_f64 v[172:173], v[172:173], v[190:191]
	v_add_f64 v[176:177], v[176:177], v[186:187]
	v_mul_f64 v[186:187], v[226:227], s[18:19]
	v_add_f64 v[178:179], v[178:179], v[192:193]
	v_mul_f64 v[192:193], v[230:231], s[30:31]
	v_add_f64 v[174:175], v[174:175], v[196:197]
	v_add_f64 v[184:185], v[184:185], v[194:195]
	v_mul_f64 v[194:195], v[226:227], s[4:5]
	v_add_f64 v[180:181], v[180:181], v[198:199]
	v_fma_f64 v[182:183], v[228:229], s[36:37], v[186:187]
	v_fma_f64 v[186:187], v[228:229], s[20:21], v[186:187]
	;; [unrolled: 1-line block ×3, first 2 shown]
	v_fma_f64 v[192:193], v[224:225], s[4:5], -v[192:193]
	v_fma_f64 v[190:191], v[228:229], s[12:13], v[194:195]
	v_fma_f64 v[194:195], v[228:229], s[30:31], v[194:195]
	v_add_f64 v[182:183], v[182:183], v[202:203]
	v_add_f64 v[186:187], v[186:187], v[200:201]
	v_mul_f64 v[200:201], v[230:231], s[16:17]
	v_mul_f64 v[202:203], v[226:227], s[14:15]
	v_add_f64 v[188:189], v[188:189], v[206:207]
	v_add_f64 v[190:191], v[190:191], v[218:219]
	;; [unrolled: 1-line block ×4, first 2 shown]
	v_fma_f64 v[196:197], v[224:225], s[14:15], v[200:201]
	v_fma_f64 v[200:201], v[224:225], s[14:15], -v[200:201]
	v_fma_f64 v[198:199], v[228:229], s[26:27], v[202:203]
	v_add_f64 v[196:197], v[196:197], v[220:221]
	v_add_f64 v[200:201], v[200:201], v[0:1]
	v_fma_f64 v[0:1], v[228:229], s[16:17], v[202:203]
	v_add_f64 v[198:199], v[198:199], v[222:223]
	v_add_f64 v[202:203], v[0:1], v[2:3]
	ds_write_b128 v249, v[168:171]
	ds_write_b128 v249, v[160:163] offset:16
	ds_write_b128 v249, v[172:175] offset:32
	;; [unrolled: 1-line block ×10, first 2 shown]
	s_and_saveexec_b64 s[36:37], vcc
	s_cbranch_execz .LBB0_13
; %bb.12:
	v_add_f64 v[0:1], v[148:149], -v[44:45]
	v_add_f64 v[192:193], v[150:151], -v[46:47]
	;; [unrolled: 1-line block ×3, first 2 shown]
	v_add_f64 v[194:195], v[150:151], v[46:47]
	v_add_f64 v[202:203], v[154:155], -v[50:51]
	v_add_f64 v[204:205], v[148:149], v[44:45]
	v_add_f64 v[196:197], v[156:157], -v[56:57]
	v_add_f64 v[200:201], v[154:155], v[50:51]
	v_mul_f64 v[164:165], v[0:1], s[28:29]
	v_mul_f64 v[166:167], v[192:193], s[28:29]
	;; [unrolled: 1-line block ×3, first 2 shown]
	v_add_f64 v[216:217], v[158:159], -v[58:59]
	v_add_f64 v[218:219], v[152:153], v[48:49]
	v_mul_f64 v[174:175], v[202:203], s[22:23]
	v_add_f64 v[188:189], v[52:53], -v[60:61]
	v_add_f64 v[198:199], v[158:159], v[58:59]
	v_fma_f64 v[170:171], v[194:195], s[24:25], v[164:165]
	v_fma_f64 v[176:177], v[204:205], s[24:25], -v[166:167]
	v_mul_f64 v[172:173], v[196:197], s[20:21]
	v_fma_f64 v[178:179], v[200:201], s[2:3], v[168:169]
	v_add_f64 v[220:221], v[54:55], -v[62:63]
	v_add_f64 v[222:223], v[156:157], v[56:57]
	v_mul_f64 v[182:183], v[216:217], s[20:21]
	v_fma_f64 v[184:185], v[218:219], s[2:3], -v[174:175]
	v_add_f64 v[170:171], v[146:147], v[170:171]
	v_add_f64 v[176:177], v[144:145], v[176:177]
	v_add_f64 v[2:3], v[64:65], -v[68:69]
	v_add_f64 v[162:163], v[54:55], v[62:63]
	v_add_f64 v[206:207], v[66:67], -v[70:71]
	v_mul_f64 v[180:181], v[188:189], s[30:31]
	v_fma_f64 v[186:187], v[198:199], s[18:19], v[172:173]
	v_add_f64 v[224:225], v[52:53], v[60:61]
	v_add_f64 v[170:171], v[178:179], v[170:171]
	v_mul_f64 v[226:227], v[220:221], s[30:31]
	v_fma_f64 v[164:165], v[194:195], s[24:25], -v[164:165]
	v_fma_f64 v[228:229], v[222:223], s[18:19], -v[182:183]
	v_add_f64 v[176:177], v[184:185], v[176:177]
	v_add_f64 v[160:161], v[66:67], v[70:71]
	v_mul_f64 v[178:179], v[2:3], s[16:17]
	v_fma_f64 v[184:185], v[162:163], s[4:5], v[180:181]
	v_add_f64 v[170:171], v[186:187], v[170:171]
	v_add_f64 v[230:231], v[64:65], v[68:69]
	v_mul_f64 v[186:187], v[206:207], s[16:17]
	v_fma_f64 v[168:169], v[200:201], s[2:3], -v[168:169]
	v_add_f64 v[164:165], v[146:147], v[164:165]
	v_fma_f64 v[232:233], v[224:225], s[4:5], -v[226:227]
	v_add_f64 v[176:177], v[228:229], v[176:177]
	v_fma_f64 v[228:229], v[160:161], s[14:15], v[178:179]
	v_add_f64 v[170:171], v[184:185], v[170:171]
	v_fma_f64 v[172:173], v[198:199], s[18:19], -v[172:173]
	v_fma_f64 v[166:167], v[204:205], s[24:25], v[166:167]
	v_fma_f64 v[180:181], v[162:163], s[4:5], -v[180:181]
	v_add_f64 v[164:165], v[168:169], v[164:165]
	v_fma_f64 v[168:169], v[230:231], s[14:15], -v[186:187]
	v_add_f64 v[176:177], v[232:233], v[176:177]
	v_fma_f64 v[174:175], v[218:219], s[2:3], v[174:175]
	v_mul_f64 v[234:235], v[216:217], s[0:1]
	v_mul_f64 v[238:239], v[188:189], s[28:29]
	v_add_f64 v[184:185], v[144:145], v[166:167]
	v_add_f64 v[166:167], v[228:229], v[170:171]
	;; [unrolled: 1-line block ×3, first 2 shown]
	v_fma_f64 v[170:171], v[160:161], s[14:15], -v[178:179]
	v_add_f64 v[164:165], v[168:169], v[176:177]
	v_mul_f64 v[168:169], v[0:1], s[20:21]
	v_mul_f64 v[178:179], v[192:193], s[20:21]
	v_fma_f64 v[176:177], v[222:223], s[18:19], v[182:183]
	v_add_f64 v[174:175], v[174:175], v[184:185]
	v_mul_f64 v[182:183], v[190:191], s[26:27]
	v_add_f64 v[172:173], v[180:181], v[172:173]
	v_fma_f64 v[180:181], v[230:231], s[14:15], v[186:187]
	v_fma_f64 v[186:187], v[224:225], s[4:5], v[226:227]
	;; [unrolled: 1-line block ×3, first 2 shown]
	v_mul_f64 v[226:227], v[202:203], s[26:27]
	v_fma_f64 v[228:229], v[204:205], s[18:19], -v[178:179]
	v_fma_f64 v[168:169], v[194:195], s[18:19], -v[168:169]
	v_add_f64 v[174:175], v[176:177], v[174:175]
	v_mul_f64 v[176:177], v[196:197], s[0:1]
	v_fma_f64 v[232:233], v[200:201], s[14:15], v[182:183]
	v_fma_f64 v[182:183], v[200:201], s[14:15], -v[182:183]
	v_add_f64 v[184:185], v[146:147], v[184:185]
	v_fma_f64 v[236:237], v[218:219], s[14:15], -v[226:227]
	v_add_f64 v[228:229], v[144:145], v[228:229]
	v_add_f64 v[168:169], v[146:147], v[168:169]
	v_fma_f64 v[245:246], v[222:223], s[2:3], -v[234:235]
	v_fma_f64 v[240:241], v[198:199], s[2:3], v[176:177]
	v_fma_f64 v[176:177], v[198:199], s[2:3], -v[176:177]
	v_add_f64 v[174:175], v[186:187], v[174:175]
	v_add_f64 v[184:185], v[232:233], v[184:185]
	v_mul_f64 v[232:233], v[220:221], s[28:29]
	v_add_f64 v[228:229], v[236:237], v[228:229]
	v_add_f64 v[168:169], v[182:183], v[168:169]
	v_mul_f64 v[182:183], v[2:3], s[30:31]
	v_fma_f64 v[236:237], v[162:163], s[24:25], v[238:239]
	v_fma_f64 v[238:239], v[162:163], s[24:25], -v[238:239]
	v_fma_f64 v[178:179], v[204:205], s[18:19], v[178:179]
	v_add_f64 v[184:185], v[240:241], v[184:185]
	v_mul_f64 v[240:241], v[206:207], s[30:31]
	v_fma_f64 v[249:250], v[224:225], s[24:25], -v[232:233]
	v_add_f64 v[228:229], v[245:246], v[228:229]
	v_add_f64 v[168:169], v[176:177], v[168:169]
	v_fma_f64 v[176:177], v[160:161], s[4:5], v[182:183]
	v_fma_f64 v[182:183], v[160:161], s[4:5], -v[182:183]
	v_add_f64 v[170:171], v[170:171], v[172:173]
	v_add_f64 v[184:185], v[236:237], v[184:185]
	v_fma_f64 v[186:187], v[230:231], s[4:5], -v[240:241]
	v_mul_f64 v[245:246], v[216:217], s[30:31]
	v_add_f64 v[228:229], v[249:250], v[228:229]
	v_add_f64 v[236:237], v[238:239], v[168:169]
	;; [unrolled: 1-line block ×3, first 2 shown]
	v_fma_f64 v[180:181], v[218:219], s[14:15], v[226:227]
	v_mul_f64 v[226:227], v[0:1], s[16:17]
	v_add_f64 v[238:239], v[144:145], v[178:179]
	v_add_f64 v[174:175], v[176:177], v[184:185]
	v_mul_f64 v[176:177], v[192:193], s[16:17]
	v_add_f64 v[172:173], v[186:187], v[228:229]
	v_mul_f64 v[184:185], v[190:191], s[34:35]
	v_add_f64 v[178:179], v[182:183], v[236:237]
	v_fma_f64 v[182:183], v[222:223], s[2:3], v[234:235]
	v_fma_f64 v[186:187], v[194:195], s[14:15], v[226:227]
	v_add_f64 v[180:181], v[180:181], v[238:239]
	v_fma_f64 v[228:229], v[230:231], s[4:5], v[240:241]
	v_mul_f64 v[234:235], v[202:203], s[34:35]
	v_fma_f64 v[236:237], v[204:205], s[14:15], -v[176:177]
	v_mul_f64 v[238:239], v[196:197], s[30:31]
	v_fma_f64 v[240:241], v[200:201], s[24:25], v[184:185]
	v_mul_f64 v[249:250], v[188:189], s[0:1]
	v_add_f64 v[186:187], v[146:147], v[186:187]
	v_add_f64 v[180:181], v[182:183], v[180:181]
	v_fma_f64 v[182:183], v[194:195], s[14:15], -v[226:227]
	v_fma_f64 v[226:227], v[218:219], s[24:25], -v[234:235]
	v_add_f64 v[236:237], v[144:145], v[236:237]
	v_fma_f64 v[251:252], v[198:199], s[4:5], v[238:239]
	v_fma_f64 v[232:233], v[224:225], s[24:25], v[232:233]
	v_fma_f64 v[184:185], v[200:201], s[24:25], -v[184:185]
	v_add_f64 v[186:187], v[240:241], v[186:187]
	v_mul_f64 v[240:241], v[220:221], s[0:1]
	v_add_f64 v[182:183], v[146:147], v[182:183]
	v_fma_f64 v[253:254], v[222:223], s[4:5], -v[245:246]
	v_add_f64 v[226:227], v[226:227], v[236:237]
	v_fma_f64 v[247:248], v[162:163], s[2:3], v[249:250]
	v_mul_f64 v[236:237], v[2:3], s[20:21]
	v_fma_f64 v[238:239], v[198:199], s[4:5], -v[238:239]
	v_add_f64 v[186:187], v[251:252], v[186:187]
	v_mul_f64 v[251:252], v[206:207], s[20:21]
	v_add_f64 v[182:183], v[184:185], v[182:183]
	v_fma_f64 v[184:185], v[224:225], s[2:3], -v[240:241]
	v_add_f64 v[226:227], v[253:254], v[226:227]
	v_add_f64 v[180:181], v[232:233], v[180:181]
	v_fma_f64 v[232:233], v[160:161], s[18:19], v[236:237]
	v_add_f64 v[150:151], v[146:147], v[150:151]
	v_add_f64 v[186:187], v[247:248], v[186:187]
	v_fma_f64 v[247:248], v[162:163], s[2:3], -v[249:250]
	v_fma_f64 v[249:250], v[204:205], s[14:15], v[176:177]
	v_add_f64 v[182:183], v[238:239], v[182:183]
	v_fma_f64 v[238:239], v[230:231], s[18:19], -v[251:252]
	v_add_f64 v[184:185], v[184:185], v[226:227]
	v_add_f64 v[176:177], v[228:229], v[180:181]
	v_fma_f64 v[226:227], v[160:161], s[18:19], -v[236:237]
	v_fma_f64 v[228:229], v[218:219], s[24:25], v[234:235]
	v_mul_f64 v[234:235], v[0:1], s[12:13]
	v_add_f64 v[236:237], v[144:145], v[249:250]
	v_add_f64 v[247:248], v[247:248], v[182:183]
	;; [unrolled: 1-line block ×4, first 2 shown]
	v_mul_f64 v[232:233], v[192:193], s[12:13]
	v_fma_f64 v[184:185], v[222:223], s[4:5], v[245:246]
	v_mul_f64 v[238:239], v[190:191], s[20:21]
	v_fma_f64 v[245:246], v[194:195], s[4:5], v[234:235]
	v_add_f64 v[228:229], v[228:229], v[236:237]
	v_add_f64 v[186:187], v[226:227], v[247:248]
	v_fma_f64 v[226:227], v[224:225], s[2:3], v[240:241]
	v_mul_f64 v[236:237], v[202:203], s[20:21]
	v_fma_f64 v[240:241], v[204:205], s[4:5], -v[232:233]
	v_add_f64 v[148:149], v[144:145], v[148:149]
	v_mul_f64 v[247:248], v[196:197], s[34:35]
	v_fma_f64 v[249:250], v[200:201], s[18:19], v[238:239]
	v_add_f64 v[184:185], v[184:185], v[228:229]
	v_add_f64 v[245:246], v[146:147], v[245:246]
	v_fma_f64 v[228:229], v[230:231], s[18:19], v[251:252]
	v_mul_f64 v[251:252], v[216:217], s[34:35]
	v_fma_f64 v[253:254], v[218:219], s[18:19], -v[236:237]
	v_add_f64 v[240:241], v[144:145], v[240:241]
	v_add_f64 v[150:151], v[150:151], v[154:155]
	;; [unrolled: 1-line block ×4, first 2 shown]
	v_fma_f64 v[226:227], v[194:195], s[4:5], -v[234:235]
	v_mov_b32_e32 v215, v243
	v_fma_f64 v[242:243], v[198:199], s[24:25], v[247:248]
	v_add_f64 v[245:246], v[249:250], v[245:246]
	v_mul_f64 v[234:235], v[220:221], s[26:27]
	v_fma_f64 v[249:250], v[222:223], s[24:25], -v[251:252]
	v_add_f64 v[240:241], v[253:254], v[240:241]
	v_fma_f64 v[238:239], v[200:201], s[18:19], -v[238:239]
	v_add_f64 v[226:227], v[146:147], v[226:227]
	v_add_f64 v[150:151], v[150:151], v[158:159]
	;; [unrolled: 1-line block ×3, first 2 shown]
	v_mul_f64 v[213:214], v[188:189], s[26:27]
	v_add_f64 v[6:7], v[242:243], v[245:246]
	v_fma_f64 v[245:246], v[224:225], s[14:15], -v[234:235]
	v_add_f64 v[240:241], v[249:250], v[240:241]
	v_fma_f64 v[247:248], v[198:199], s[24:25], -v[247:248]
	v_add_f64 v[226:227], v[238:239], v[226:227]
	v_mul_f64 v[0:1], v[0:1], s[0:1]
	v_add_f64 v[54:55], v[150:151], v[54:55]
	v_add_f64 v[52:53], v[152:153], v[52:53]
	v_mov_b32_e32 v9, v8
	v_mov_b32_e32 v8, v255
	;; [unrolled: 1-line block ×4, first 2 shown]
	v_fma_f64 v[4:5], v[162:163], s[14:15], v[213:214]
	v_add_f64 v[238:239], v[245:246], v[240:241]
	v_fma_f64 v[213:214], v[162:163], s[14:15], -v[213:214]
	v_add_f64 v[226:227], v[247:248], v[226:227]
	v_mul_f64 v[190:191], v[190:191], s[12:13]
	v_fma_f64 v[245:246], v[194:195], s[2:3], v[0:1]
	v_mul_f64 v[150:151], v[192:193], s[0:1]
	v_add_f64 v[54:55], v[54:55], v[66:67]
	v_add_f64 v[52:53], v[52:53], v[64:65]
	v_mul_f64 v[196:197], v[196:197], s[16:17]
	v_fma_f64 v[0:1], v[194:195], s[2:3], -v[0:1]
	v_add_f64 v[213:214], v[213:214], v[226:227]
	v_fma_f64 v[154:155], v[200:201], s[4:5], v[190:191]
	v_add_f64 v[226:227], v[146:147], v[245:246]
	v_mul_f64 v[192:193], v[202:203], s[12:13]
	v_fma_f64 v[64:65], v[204:205], s[2:3], v[150:151]
	v_fma_f64 v[232:233], v[204:205], s[4:5], v[232:233]
	v_fma_f64 v[150:151], v[204:205], s[2:3], -v[150:151]
	v_add_f64 v[54:55], v[54:55], v[70:71]
	v_add_f64 v[52:53], v[52:53], v[68:69]
	v_fma_f64 v[156:157], v[198:199], s[14:15], v[196:197]
	v_add_f64 v[154:155], v[154:155], v[226:227]
	v_mul_f64 v[66:67], v[216:217], s[16:17]
	v_fma_f64 v[190:191], v[200:201], s[4:5], -v[190:191]
	v_add_f64 v[0:1], v[146:147], v[0:1]
	v_fma_f64 v[146:147], v[218:219], s[4:5], v[192:193]
	v_add_f64 v[64:65], v[144:145], v[64:65]
	v_fma_f64 v[236:237], v[218:219], s[18:19], v[236:237]
	v_add_f64 v[232:233], v[144:145], v[232:233]
	v_fma_f64 v[68:69], v[218:219], s[4:5], -v[192:193]
	v_add_f64 v[70:71], v[144:145], v[150:151]
	v_add_f64 v[54:55], v[54:55], v[62:63]
	;; [unrolled: 1-line block ×3, first 2 shown]
	v_mul_f64 v[188:189], v[188:189], s[20:21]
	v_add_f64 v[152:153], v[156:157], v[154:155]
	v_mul_f64 v[156:157], v[220:221], s[20:21]
	v_fma_f64 v[144:145], v[198:199], s[14:15], -v[196:197]
	v_add_f64 v[0:1], v[190:191], v[0:1]
	v_fma_f64 v[150:151], v[222:223], s[14:15], v[66:67]
	v_add_f64 v[60:61], v[146:147], v[64:65]
	v_mul_f64 v[253:254], v[2:3], s[22:23]
	v_fma_f64 v[247:248], v[222:223], s[24:25], v[251:252]
	v_add_f64 v[232:233], v[236:237], v[232:233]
	v_fma_f64 v[62:63], v[222:223], s[14:15], -v[66:67]
	v_add_f64 v[64:65], v[68:69], v[70:71]
	v_add_f64 v[54:55], v[54:55], v[58:59]
	;; [unrolled: 1-line block ×3, first 2 shown]
	v_mul_f64 v[2:3], v[2:3], s[28:29]
	v_mul_f64 v[154:155], v[206:207], s[28:29]
	v_fma_f64 v[66:67], v[162:163], s[18:19], -v[188:189]
	v_add_f64 v[0:1], v[144:145], v[0:1]
	v_fma_f64 v[68:69], v[224:225], s[18:19], v[156:157]
	v_add_f64 v[56:57], v[150:151], v[60:61]
	v_mul_f64 v[242:243], v[206:207], s[22:23]
	v_fma_f64 v[240:241], v[160:161], s[2:3], -v[253:254]
	v_fma_f64 v[234:235], v[224:225], s[14:15], v[234:235]
	v_add_f64 v[232:233], v[247:248], v[232:233]
	v_fma_f64 v[226:227], v[162:163], s[18:19], v[188:189]
	v_fma_f64 v[58:59], v[224:225], s[18:19], -v[156:157]
	v_add_f64 v[60:61], v[62:63], v[64:65]
	v_add_f64 v[50:51], v[54:55], v[50:51]
	;; [unrolled: 1-line block ×3, first 2 shown]
	v_fma_f64 v[62:63], v[160:161], s[24:25], -v[2:3]
	v_add_f64 v[0:1], v[66:67], v[0:1]
	v_fma_f64 v[64:65], v[230:231], s[24:25], v[154:155]
	v_add_f64 v[56:57], v[68:69], v[56:57]
	v_add_f64 v[148:149], v[240:241], v[213:214]
	v_fma_f64 v[158:159], v[230:231], s[2:3], v[242:243]
	v_add_f64 v[213:214], v[234:235], v[232:233]
	;; [unrolled: 3-line block ×3, first 2 shown]
	v_fma_f64 v[6:7], v[230:231], s[2:3], -v[242:243]
	v_fma_f64 v[2:3], v[160:161], s[24:25], v[2:3]
	v_add_f64 v[66:67], v[226:227], v[152:153]
	v_fma_f64 v[68:69], v[230:231], s[24:25], -v[154:155]
	v_add_f64 v[58:59], v[58:59], v[60:61]
	v_add_f64 v[52:53], v[50:51], v[46:47]
	v_add_f64 v[50:51], v[54:55], v[44:45]
	v_add_f64 v[48:49], v[62:63], v[0:1]
	v_add_f64 v[46:47], v[64:65], v[56:57]
	v_add_f64 v[146:147], v[158:159], v[213:214]
	v_mov_b32_e32 v243, v215
	v_lshl_add_u32 v0, v10, 4, v255
	v_mov_b32_e32 v255, v8
	v_mov_b32_e32 v8, v9
	v_add_f64 v[56:57], v[228:229], v[4:5]
	v_add_f64 v[54:55], v[6:7], v[238:239]
	;; [unrolled: 1-line block ×4, first 2 shown]
	ds_write_b128 v0, v[50:53]
	ds_write_b128 v0, v[46:49] offset:16
	ds_write_b128 v0, v[146:149] offset:32
	;; [unrolled: 1-line block ×10, first 2 shown]
.LBB0_13:
	s_or_b64 exec, exec, s[36:37]
	s_waitcnt lgkmcnt(0)
	; wave barrier
	s_waitcnt lgkmcnt(0)
	ds_read_b128 v[44:47], v244
	ds_read_b128 v[48:51], v244 offset:176
	ds_read_b128 v[52:55], v244 offset:1056
	;; [unrolled: 1-line block ×11, first 2 shown]
	s_waitcnt lgkmcnt(5)
	v_mul_f64 v[0:1], v[86:87], v[70:71]
	v_mul_f64 v[4:5], v[82:83], v[54:55]
	;; [unrolled: 1-line block ×4, first 2 shown]
	s_waitcnt lgkmcnt(1)
	v_mul_f64 v[176:177], v[78:79], v[158:159]
	v_mul_f64 v[180:181], v[74:75], v[60:61]
	ds_read_b128 v[164:167], v244 offset:1760
	ds_read_b128 v[168:171], v244 offset:1936
	;; [unrolled: 1-line block ×3, first 2 shown]
	v_mul_f64 v[178:179], v[78:79], v[156:157]
	v_fma_f64 v[0:1], v[84:85], v[68:69], v[0:1]
	v_mul_f64 v[68:69], v[74:75], v[62:63]
	v_fma_f64 v[4:5], v[80:81], v[52:53], v[4:5]
	v_mul_f64 v[52:53], v[86:87], v[150:151]
	v_fma_f64 v[6:7], v[80:81], v[54:55], -v[6:7]
	v_fma_f64 v[54:55], v[76:77], v[156:157], v[176:177]
	v_fma_f64 v[2:3], v[84:85], v[70:71], -v[2:3]
	v_fma_f64 v[62:63], v[72:73], v[62:63], -v[180:181]
	s_waitcnt lgkmcnt(2)
	v_mul_f64 v[156:157], v[78:79], v[166:167]
	v_fma_f64 v[60:61], v[72:73], v[60:61], v[68:69]
	v_mul_f64 v[68:69], v[86:87], v[148:149]
	v_mul_f64 v[86:87], v[82:83], v[58:59]
	;; [unrolled: 1-line block ×3, first 2 shown]
	v_fma_f64 v[148:149], v[84:85], v[148:149], v[52:53]
	v_mul_f64 v[52:53], v[74:75], v[66:67]
	v_mul_f64 v[74:75], v[74:75], v[64:65]
	;; [unrolled: 1-line block ×3, first 2 shown]
	v_fma_f64 v[70:71], v[76:77], v[158:159], -v[178:179]
	v_fma_f64 v[84:85], v[84:85], v[150:151], -v[68:69]
	v_fma_f64 v[86:87], v[80:81], v[56:57], v[86:87]
	v_fma_f64 v[82:83], v[80:81], v[58:59], -v[82:83]
	v_mul_f64 v[56:57], v[102:103], v[154:155]
	v_fma_f64 v[68:69], v[72:73], v[64:65], v[52:53]
	v_fma_f64 v[74:75], v[72:73], v[66:67], -v[74:75]
	v_mul_f64 v[52:53], v[102:103], v[152:153]
	v_mul_f64 v[58:59], v[98:99], v[162:163]
	v_add_f64 v[64:65], v[44:45], v[0:1]
	v_add_f64 v[72:73], v[4:5], v[54:55]
	v_fma_f64 v[80:81], v[76:77], v[164:165], v[156:157]
	v_fma_f64 v[78:79], v[76:77], v[166:167], -v[78:79]
	v_mul_f64 v[66:67], v[98:99], v[160:161]
	v_fma_f64 v[98:99], v[100:101], v[152:153], v[56:57]
	s_waitcnt lgkmcnt(1)
	v_mul_f64 v[56:57], v[94:95], v[170:171]
	v_mul_f64 v[76:77], v[94:95], v[168:169]
	v_fma_f64 v[94:95], v[100:101], v[154:155], -v[52:53]
	v_fma_f64 v[100:101], v[96:97], v[160:161], v[58:59]
	v_add_f64 v[52:53], v[64:65], v[4:5]
	v_fma_f64 v[58:59], v[72:73], -0.5, v[44:45]
	v_add_f64 v[64:65], v[2:3], -v[62:63]
	s_mov_b32 s0, 0x134454ff
	s_mov_b32 s1, 0xbfee6f0e
	v_fma_f64 v[96:97], v[96:97], v[162:163], -v[66:67]
	v_fma_f64 v[102:103], v[92:93], v[168:169], v[56:57]
	v_fma_f64 v[92:93], v[92:93], v[170:171], -v[76:77]
	s_waitcnt lgkmcnt(0)
	v_mul_f64 v[56:57], v[90:91], v[174:175]
	v_mul_f64 v[66:67], v[90:91], v[172:173]
	v_fma_f64 v[72:73], v[64:65], s[0:1], v[58:59]
	v_add_f64 v[76:77], v[6:7], -v[70:71]
	v_add_f64 v[90:91], v[0:1], v[60:61]
	v_add_f64 v[150:151], v[0:1], -v[4:5]
	v_add_f64 v[152:153], v[60:61], -v[54:55]
	s_mov_b32 s2, 0x4755a5e
	s_mov_b32 s3, 0xbfe2cf23
	;; [unrolled: 1-line block ×4, first 2 shown]
	v_fma_f64 v[154:155], v[88:89], v[172:173], v[56:57]
	v_fma_f64 v[156:157], v[88:89], v[174:175], -v[66:67]
	v_fma_f64 v[44:45], v[90:91], -0.5, v[44:45]
	v_fma_f64 v[56:57], v[76:77], s[2:3], v[72:73]
	v_add_f64 v[66:67], v[150:151], v[152:153]
	v_add_f64 v[72:73], v[46:47], v[2:3]
	;; [unrolled: 1-line block ×3, first 2 shown]
	v_fma_f64 v[58:59], v[64:65], s[4:5], v[58:59]
	v_add_f64 v[150:151], v[4:5], -v[0:1]
	v_add_f64 v[152:153], v[54:55], -v[60:61]
	s_mov_b32 s13, 0x3fe2cf23
	s_mov_b32 s12, s2
	v_add_f64 v[52:53], v[52:53], v[54:55]
	v_fma_f64 v[90:91], v[76:77], s[4:5], v[44:45]
	v_fma_f64 v[44:45], v[76:77], s[0:1], v[44:45]
	v_add_f64 v[72:73], v[72:73], v[6:7]
	v_fma_f64 v[88:89], v[88:89], -0.5, v[46:47]
	v_add_f64 v[0:1], v[0:1], -v[60:61]
	v_fma_f64 v[58:59], v[76:77], s[12:13], v[58:59]
	v_add_f64 v[76:77], v[150:151], v[152:153]
	v_add_f64 v[150:151], v[2:3], v[62:63]
	;; [unrolled: 1-line block ×3, first 2 shown]
	v_fma_f64 v[60:61], v[64:65], s[2:3], v[90:91]
	v_fma_f64 v[64:65], v[64:65], s[12:13], v[44:45]
	v_add_f64 v[72:73], v[72:73], v[70:71]
	v_fma_f64 v[90:91], v[0:1], s[4:5], v[88:89]
	v_add_f64 v[4:5], v[4:5], -v[54:55]
	s_mov_b32 s14, 0x372fe950
	v_fma_f64 v[46:47], v[150:151], -0.5, v[46:47]
	s_mov_b32 s15, 0x3fd3c6ef
	v_fma_f64 v[44:45], v[66:67], s[14:15], v[56:57]
	v_fma_f64 v[56:57], v[66:67], s[14:15], v[58:59]
	;; [unrolled: 1-line block ×4, first 2 shown]
	v_add_f64 v[54:55], v[72:73], v[62:63]
	v_fma_f64 v[58:59], v[4:5], s[12:13], v[90:91]
	v_add_f64 v[66:67], v[2:3], -v[6:7]
	v_add_f64 v[72:73], v[62:63], -v[70:71]
	v_add_f64 v[76:77], v[48:49], v[148:149]
	v_fma_f64 v[88:89], v[0:1], s[0:1], v[88:89]
	v_add_f64 v[90:91], v[86:87], v[80:81]
	v_fma_f64 v[150:151], v[4:5], s[0:1], v[46:47]
	v_add_f64 v[2:3], v[6:7], -v[2:3]
	v_add_f64 v[6:7], v[70:71], -v[62:63]
	v_fma_f64 v[46:47], v[4:5], s[4:5], v[46:47]
	v_add_f64 v[62:63], v[66:67], v[72:73]
	v_add_f64 v[66:67], v[76:77], v[86:87]
	v_fma_f64 v[4:5], v[4:5], s[2:3], v[88:89]
	v_fma_f64 v[70:71], v[90:91], -0.5, v[48:49]
	v_add_f64 v[76:77], v[84:85], -v[74:75]
	v_fma_f64 v[72:73], v[0:1], s[12:13], v[150:151]
	v_add_f64 v[2:3], v[2:3], v[6:7]
	v_fma_f64 v[0:1], v[0:1], s[2:3], v[46:47]
	v_add_f64 v[6:7], v[148:149], v[68:69]
	v_add_f64 v[88:89], v[66:67], v[80:81]
	v_fma_f64 v[46:47], v[62:63], s[14:15], v[58:59]
	v_fma_f64 v[58:59], v[62:63], s[14:15], v[4:5]
	;; [unrolled: 1-line block ×3, first 2 shown]
	v_add_f64 v[90:91], v[82:83], -v[78:79]
	v_fma_f64 v[62:63], v[2:3], s[14:15], v[72:73]
	v_fma_f64 v[66:67], v[2:3], s[14:15], v[0:1]
	v_fma_f64 v[0:1], v[6:7], -0.5, v[48:49]
	v_add_f64 v[2:3], v[148:149], -v[86:87]
	v_add_f64 v[6:7], v[68:69], -v[80:81]
	v_add_f64 v[48:49], v[88:89], v[68:69]
	v_fma_f64 v[70:71], v[76:77], s[4:5], v[70:71]
	v_fma_f64 v[4:5], v[90:91], s[2:3], v[4:5]
	v_add_f64 v[72:73], v[50:51], v[84:85]
	v_add_f64 v[88:89], v[82:83], v[78:79]
	v_fma_f64 v[150:151], v[90:91], s[4:5], v[0:1]
	v_add_f64 v[152:153], v[86:87], -v[148:149]
	v_add_f64 v[158:159], v[80:81], -v[68:69]
	v_add_f64 v[2:3], v[2:3], v[6:7]
	v_fma_f64 v[0:1], v[90:91], s[0:1], v[0:1]
	v_fma_f64 v[6:7], v[90:91], s[12:13], v[70:71]
	v_add_f64 v[70:71], v[72:73], v[82:83]
	v_fma_f64 v[88:89], v[88:89], -0.5, v[50:51]
	v_add_f64 v[90:91], v[148:149], -v[68:69]
	v_fma_f64 v[148:149], v[76:77], s[2:3], v[150:151]
	v_add_f64 v[150:151], v[152:153], v[158:159]
	v_fma_f64 v[68:69], v[2:3], s[14:15], v[4:5]
	v_fma_f64 v[0:1], v[76:77], s[12:13], v[0:1]
	v_add_f64 v[4:5], v[84:85], v[74:75]
	v_fma_f64 v[72:73], v[2:3], s[14:15], v[6:7]
	v_add_f64 v[2:3], v[70:71], v[78:79]
	v_fma_f64 v[6:7], v[90:91], s[4:5], v[88:89]
	v_add_f64 v[70:71], v[86:87], -v[80:81]
	v_add_f64 v[86:87], v[100:101], v[102:103]
	v_fma_f64 v[76:77], v[150:151], s[14:15], v[148:149]
	v_fma_f64 v[80:81], v[150:151], s[14:15], v[0:1]
	v_fma_f64 v[0:1], v[4:5], -0.5, v[50:51]
	v_add_f64 v[148:149], v[84:85], -v[82:83]
	v_add_f64 v[152:153], v[74:75], -v[78:79]
	v_add_f64 v[50:51], v[2:3], v[74:75]
	v_fma_f64 v[2:3], v[70:71], s[12:13], v[6:7]
	v_fma_f64 v[6:7], v[86:87], -0.5, v[144:145]
	v_add_f64 v[86:87], v[94:95], -v[156:157]
	v_add_f64 v[82:83], v[82:83], -v[84:85]
	v_fma_f64 v[150:151], v[70:71], s[0:1], v[0:1]
	v_add_f64 v[74:75], v[78:79], -v[74:75]
	v_fma_f64 v[0:1], v[70:71], s[4:5], v[0:1]
	v_add_f64 v[4:5], v[144:145], v[98:99]
	v_add_f64 v[148:149], v[148:149], v[152:153]
	v_fma_f64 v[88:89], v[90:91], s[0:1], v[88:89]
	v_fma_f64 v[78:79], v[86:87], s[0:1], v[6:7]
	v_add_f64 v[152:153], v[96:97], -v[92:93]
	v_add_f64 v[84:85], v[98:99], -v[100:101]
	;; [unrolled: 1-line block ×3, first 2 shown]
	v_fma_f64 v[150:151], v[90:91], s[12:13], v[150:151]
	v_add_f64 v[82:83], v[82:83], v[74:75]
	v_fma_f64 v[0:1], v[90:91], s[2:3], v[0:1]
	v_add_f64 v[4:5], v[4:5], v[100:101]
	v_add_f64 v[160:161], v[98:99], v[154:155]
	v_fma_f64 v[88:89], v[70:71], s[2:3], v[88:89]
	v_fma_f64 v[90:91], v[152:153], s[2:3], v[78:79]
	v_add_f64 v[158:159], v[84:85], v[158:159]
	v_fma_f64 v[70:71], v[148:149], s[14:15], v[2:3]
	v_fma_f64 v[78:79], v[82:83], s[14:15], v[150:151]
	v_fma_f64 v[82:83], v[82:83], s[14:15], v[0:1]
	v_add_f64 v[0:1], v[96:97], v[92:93]
	v_add_f64 v[4:5], v[4:5], v[102:103]
	v_fma_f64 v[2:3], v[160:161], -0.5, v[144:145]
	v_add_f64 v[144:145], v[94:95], v[156:157]
	v_fma_f64 v[74:75], v[148:149], s[14:15], v[88:89]
	v_fma_f64 v[88:89], v[158:159], s[14:15], v[90:91]
	v_add_f64 v[90:91], v[100:101], -v[98:99]
	v_add_f64 v[148:149], v[102:103], -v[154:155]
	v_add_f64 v[150:151], v[146:147], v[94:95]
	v_fma_f64 v[0:1], v[0:1], -0.5, v[146:147]
	v_add_f64 v[98:99], v[98:99], -v[154:155]
	v_add_f64 v[84:85], v[4:5], v[154:155]
	v_fma_f64 v[4:5], v[86:87], s[4:5], v[6:7]
	v_add_f64 v[100:101], v[100:101], -v[102:103]
	v_fma_f64 v[102:103], v[144:145], -0.5, v[146:147]
	v_fma_f64 v[6:7], v[152:153], s[4:5], v[2:3]
	v_add_f64 v[90:91], v[90:91], v[148:149]
	v_fma_f64 v[2:3], v[152:153], s[0:1], v[2:3]
	v_add_f64 v[144:145], v[150:151], v[96:97]
	v_fma_f64 v[146:147], v[98:99], s[4:5], v[0:1]
	v_add_f64 v[148:149], v[94:95], -v[96:97]
	v_add_f64 v[150:151], v[156:157], -v[92:93]
	v_fma_f64 v[4:5], v[152:153], s[12:13], v[4:5]
	v_fma_f64 v[0:1], v[98:99], s[0:1], v[0:1]
	;; [unrolled: 1-line block ×3, first 2 shown]
	v_add_f64 v[94:95], v[96:97], -v[94:95]
	v_add_f64 v[96:97], v[92:93], -v[156:157]
	v_fma_f64 v[102:103], v[100:101], s[4:5], v[102:103]
	v_fma_f64 v[6:7], v[86:87], s[2:3], v[6:7]
	;; [unrolled: 1-line block ×3, first 2 shown]
	v_add_f64 v[86:87], v[144:145], v[92:93]
	v_fma_f64 v[144:145], v[100:101], s[12:13], v[146:147]
	v_add_f64 v[146:147], v[148:149], v[150:151]
	v_fma_f64 v[0:1], v[100:101], s[2:3], v[0:1]
	v_fma_f64 v[148:149], v[98:99], s[12:13], v[152:153]
	v_add_f64 v[150:151], v[94:95], v[96:97]
	v_fma_f64 v[102:103], v[98:99], s[2:3], v[102:103]
	v_fma_f64 v[96:97], v[90:91], s[14:15], v[6:7]
	;; [unrolled: 1-line block ×3, first 2 shown]
	v_add_f64 v[86:87], v[86:87], v[156:157]
	v_fma_f64 v[90:91], v[146:147], s[14:15], v[144:145]
	v_fma_f64 v[92:93], v[158:159], s[14:15], v[4:5]
	;; [unrolled: 1-line block ×5, first 2 shown]
	s_waitcnt lgkmcnt(0)
	; wave barrier
	ds_write_b128 v244, v[52:55]
	ds_write_b128 v244, v[44:47] offset:176
	ds_write_b128 v244, v[60:63] offset:352
	;; [unrolled: 1-line block ×14, first 2 shown]
	s_waitcnt lgkmcnt(0)
	; wave barrier
	s_waitcnt lgkmcnt(0)
	ds_read_b128 v[44:47], v244 offset:880
	ds_read_b128 v[48:51], v244
	ds_read_b128 v[52:55], v244 offset:176
	ds_read_b128 v[56:59], v244 offset:1760
	;; [unrolled: 1-line block ×10, first 2 shown]
	s_waitcnt lgkmcnt(11)
	v_mul_f64 v[0:1], v[110:111], v[46:47]
	v_mul_f64 v[2:3], v[110:111], v[44:45]
	s_waitcnt lgkmcnt(8)
	v_mul_f64 v[4:5], v[106:107], v[58:59]
	v_mul_f64 v[6:7], v[106:107], v[56:57]
	;; [unrolled: 3-line block ×3, first 2 shown]
	ds_read_b128 v[92:95], v244 offset:1408
	ds_read_b128 v[96:99], v244 offset:1584
	;; [unrolled: 1-line block ×3, first 2 shown]
	v_fma_f64 v[0:1], v[108:109], v[44:45], v[0:1]
	v_fma_f64 v[2:3], v[108:109], v[46:47], -v[2:3]
	v_mul_f64 v[44:45], v[114:115], v[62:63]
	v_fma_f64 v[4:5], v[104:105], v[56:57], v[4:5]
	v_mul_f64 v[46:47], v[114:115], v[60:61]
	s_waitcnt lgkmcnt(8)
	v_mul_f64 v[56:57], v[126:127], v[70:71]
	v_fma_f64 v[6:7], v[104:105], v[58:59], -v[6:7]
	v_fma_f64 v[64:65], v[116:117], v[64:65], v[106:107]
	v_fma_f64 v[58:59], v[116:117], v[66:67], -v[110:111]
	v_mul_f64 v[66:67], v[126:127], v[68:69]
	v_fma_f64 v[60:61], v[112:113], v[60:61], v[44:45]
	s_waitcnt lgkmcnt(5)
	v_mul_f64 v[44:45], v[122:123], v[82:83]
	v_mul_f64 v[104:105], v[122:123], v[80:81]
	s_waitcnt lgkmcnt(2)
	v_mul_f64 v[106:107], v[134:135], v[94:95]
	v_fma_f64 v[62:63], v[112:113], v[62:63], -v[46:47]
	v_mul_f64 v[46:47], v[134:135], v[92:93]
	v_fma_f64 v[68:69], v[124:125], v[68:69], v[56:57]
	v_mul_f64 v[56:57], v[130:131], v[86:87]
	v_fma_f64 v[70:71], v[124:125], v[70:71], -v[66:67]
	v_fma_f64 v[80:81], v[120:121], v[80:81], v[44:45]
	v_fma_f64 v[82:83], v[120:121], v[82:83], -v[104:105]
	v_fma_f64 v[104:105], v[132:133], v[92:93], v[106:107]
	v_mul_f64 v[44:45], v[130:131], v[84:85]
	v_fma_f64 v[94:95], v[132:133], v[94:95], -v[46:47]
	s_waitcnt lgkmcnt(1)
	v_mul_f64 v[46:47], v[142:143], v[98:99]
	v_add_f64 v[66:67], v[0:1], v[4:5]
	v_fma_f64 v[106:107], v[128:129], v[84:85], v[56:57]
	v_mul_f64 v[56:57], v[142:143], v[96:97]
	s_waitcnt lgkmcnt(0)
	v_mul_f64 v[84:85], v[138:139], v[102:103]
	v_mul_f64 v[92:93], v[138:139], v[100:101]
	v_fma_f64 v[86:87], v[128:129], v[86:87], -v[44:45]
	v_add_f64 v[44:45], v[48:49], v[0:1]
	v_fma_f64 v[96:97], v[140:141], v[96:97], v[46:47]
	v_fma_f64 v[46:47], v[66:67], -0.5, v[48:49]
	v_add_f64 v[66:67], v[2:3], -v[6:7]
	v_fma_f64 v[98:99], v[140:141], v[98:99], -v[56:57]
	v_fma_f64 v[100:101], v[136:137], v[100:101], v[84:85]
	v_add_f64 v[56:57], v[2:3], v[6:7]
	v_add_f64 v[2:3], v[50:51], v[2:3]
	v_add_f64 v[84:85], v[64:65], v[60:61]
	s_mov_b32 s0, 0xe8584caa
	s_mov_b32 s1, 0xbfebb67a
	;; [unrolled: 1-line block ×4, first 2 shown]
	v_fma_f64 v[102:103], v[136:137], v[102:103], -v[92:93]
	v_add_f64 v[44:45], v[44:45], v[4:5]
	v_fma_f64 v[48:49], v[66:67], s[0:1], v[46:47]
	v_fma_f64 v[92:93], v[56:57], -0.5, v[50:51]
	v_add_f64 v[0:1], v[0:1], -v[4:5]
	v_fma_f64 v[56:57], v[66:67], s[2:3], v[46:47]
	v_add_f64 v[4:5], v[52:53], v[64:65]
	v_add_f64 v[46:47], v[2:3], v[6:7]
	;; [unrolled: 1-line block ×3, first 2 shown]
	v_fma_f64 v[6:7], v[84:85], -0.5, v[52:53]
	v_add_f64 v[66:67], v[58:59], -v[62:63]
	v_add_f64 v[84:85], v[54:55], v[58:59]
	v_fma_f64 v[50:51], v[0:1], s[2:3], v[92:93]
	v_fma_f64 v[58:59], v[0:1], s[0:1], v[92:93]
	v_add_f64 v[52:53], v[4:5], v[60:61]
	v_add_f64 v[0:1], v[68:69], v[80:81]
	v_fma_f64 v[2:3], v[2:3], -0.5, v[54:55]
	v_add_f64 v[4:5], v[64:65], -v[60:61]
	v_fma_f64 v[60:61], v[66:67], s[0:1], v[6:7]
	v_fma_f64 v[64:65], v[66:67], s[2:3], v[6:7]
	v_add_f64 v[6:7], v[70:71], v[82:83]
	v_add_f64 v[54:55], v[84:85], v[62:63]
	;; [unrolled: 1-line block ×3, first 2 shown]
	v_fma_f64 v[0:1], v[0:1], -0.5, v[72:73]
	v_add_f64 v[92:93], v[70:71], -v[82:83]
	v_fma_f64 v[62:63], v[4:5], s[2:3], v[2:3]
	v_add_f64 v[108:109], v[104:105], v[106:107]
	v_fma_f64 v[66:67], v[4:5], s[0:1], v[2:3]
	v_add_f64 v[2:3], v[74:75], v[70:71]
	v_fma_f64 v[4:5], v[6:7], -0.5, v[74:75]
	v_add_f64 v[6:7], v[68:69], -v[80:81]
	v_add_f64 v[68:69], v[84:85], v[80:81]
	v_fma_f64 v[72:73], v[92:93], s[0:1], v[0:1]
	v_add_f64 v[84:85], v[76:77], v[104:105]
	v_fma_f64 v[108:109], v[108:109], -0.5, v[76:77]
	v_add_f64 v[110:111], v[94:95], -v[86:87]
	v_fma_f64 v[80:81], v[92:93], s[2:3], v[0:1]
	v_add_f64 v[70:71], v[2:3], v[82:83]
	v_fma_f64 v[74:75], v[6:7], s[2:3], v[4:5]
	v_add_f64 v[0:1], v[94:95], v[86:87]
	;; [unrolled: 2-line block ×3, first 2 shown]
	v_add_f64 v[4:5], v[98:99], v[102:103]
	v_add_f64 v[76:77], v[84:85], v[106:107]
	v_fma_f64 v[84:85], v[110:111], s[0:1], v[108:109]
	v_fma_f64 v[92:93], v[110:111], s[2:3], v[108:109]
	v_add_f64 v[6:7], v[78:79], v[94:95]
	v_fma_f64 v[0:1], v[0:1], -0.5, v[78:79]
	v_add_f64 v[94:95], v[104:105], -v[106:107]
	v_add_f64 v[104:105], v[88:89], v[96:97]
	v_fma_f64 v[2:3], v[2:3], -0.5, v[88:89]
	v_add_f64 v[106:107], v[98:99], -v[102:103]
	;; [unrolled: 3-line block ×3, first 2 shown]
	v_add_f64 v[78:79], v[6:7], v[86:87]
	v_fma_f64 v[86:87], v[94:95], s[2:3], v[0:1]
	v_fma_f64 v[94:95], v[94:95], s[0:1], v[0:1]
	v_add_f64 v[88:89], v[104:105], v[100:101]
	v_fma_f64 v[96:97], v[106:107], s[0:1], v[2:3]
	v_fma_f64 v[100:101], v[106:107], s[2:3], v[2:3]
	;; [unrolled: 3-line block ×3, first 2 shown]
	ds_write_b128 v244, v[44:47]
	ds_write_b128 v211, v[48:51] offset:880
	ds_write_b128 v211, v[56:59] offset:1760
	;; [unrolled: 1-line block ×14, first 2 shown]
	s_waitcnt lgkmcnt(0)
	; wave barrier
	s_waitcnt lgkmcnt(0)
	ds_read_b128 v[44:47], v244
	ds_read_b128 v[48:51], v244 offset:240
	v_mad_u64_u32 v[0:1], s[0:1], s10, v210, 0
	s_mov_b32 s2, 0x8d3018d3
	s_waitcnt lgkmcnt(1)
	v_mul_f64 v[2:3], v[42:43], v[46:47]
	v_mul_f64 v[4:5], v[42:43], v[44:45]
	s_mov_b32 s3, 0x3f78d301
	v_mad_u64_u32 v[52:53], s[0:1], s8, v255, 0
	v_mad_u64_u32 v[6:7], s[0:1], s11, v210, v[1:2]
	v_fma_f64 v[2:3], v[40:41], v[44:45], v[2:3]
	v_fma_f64 v[4:5], v[40:41], v[46:47], -v[4:5]
	v_mov_b32_e32 v1, v6
	v_mov_b32_e32 v6, v53
	v_mad_u64_u32 v[6:7], s[0:1], s9, v255, v[6:7]
	v_lshlrev_b64 v[0:1], 4, v[0:1]
	ds_read_b128 v[44:47], v244 offset:480
	v_mul_f64 v[40:41], v[2:3], s[2:3]
	v_mul_f64 v[42:43], v[4:5], s[2:3]
	s_waitcnt lgkmcnt(1)
	v_mul_f64 v[2:3], v[34:35], v[50:51]
	v_mul_f64 v[4:5], v[34:35], v[48:49]
	v_mov_b32_e32 v53, v6
	v_mov_b32_e32 v6, s7
	v_add_co_u32_e64 v34, s[0:1], s6, v0
	v_addc_co_u32_e64 v35, s[0:1], v6, v1, s[0:1]
	v_fma_f64 v[2:3], v[32:33], v[48:49], v[2:3]
	v_fma_f64 v[4:5], v[32:33], v[50:51], -v[4:5]
	ds_read_b128 v[48:51], v244 offset:720
	v_lshlrev_b64 v[0:1], 4, v[52:53]
	v_add_co_u32_e64 v0, s[0:1], v34, v0
	v_addc_co_u32_e64 v1, s[0:1], v35, v1, s[0:1]
	global_store_dwordx4 v[0:1], v[40:43], off
	s_mul_i32 s0, s9, 15
	v_mul_f64 v[40:41], v[2:3], s[2:3]
	v_mul_f64 v[42:43], v[4:5], s[2:3]
	s_waitcnt lgkmcnt(1)
	v_mul_f64 v[2:3], v[38:39], v[46:47]
	v_mul_f64 v[4:5], v[38:39], v[44:45]
	s_mul_hi_u32 s1, s8, 15
	s_waitcnt lgkmcnt(0)
	v_mul_f64 v[6:7], v[22:23], v[50:51]
	v_mul_f64 v[22:23], v[22:23], v[48:49]
	s_add_i32 s1, s1, s0
	s_mul_i32 s0, s8, 15
	s_lshl_b64 s[4:5], s[0:1], 4
	v_fma_f64 v[2:3], v[36:37], v[44:45], v[2:3]
	v_fma_f64 v[4:5], v[36:37], v[46:47], -v[4:5]
	v_mov_b32_e32 v52, s5
	v_add_co_u32_e64 v0, s[0:1], s4, v0
	v_addc_co_u32_e64 v1, s[0:1], v1, v52, s[0:1]
	global_store_dwordx4 v[0:1], v[40:43], off
	v_mul_f64 v[36:37], v[2:3], s[2:3]
	v_mul_f64 v[38:39], v[4:5], s[2:3]
	v_add_co_u32_e64 v0, s[0:1], s4, v0
	v_addc_co_u32_e64 v1, s[0:1], v1, v52, s[0:1]
	ds_read_b128 v[40:43], v244 offset:960
	v_fma_f64 v[2:3], v[20:21], v[48:49], v[6:7]
	v_fma_f64 v[4:5], v[20:21], v[50:51], -v[22:23]
	ds_read_b128 v[20:23], v244 offset:1200
	global_store_dwordx4 v[0:1], v[36:39], off
	buffer_load_dword v8, off, s[40:43], 0 offset:48 ; 4-byte Folded Reload
	buffer_load_dword v9, off, s[40:43], 0 offset:52 ; 4-byte Folded Reload
	;; [unrolled: 1-line block ×4, first 2 shown]
	s_waitcnt lgkmcnt(1)
	v_mul_f64 v[6:7], v[30:31], v[42:43]
	v_mul_f64 v[44:45], v[30:31], v[40:41]
	v_add_co_u32_e64 v0, s[0:1], s4, v0
	v_mul_f64 v[30:31], v[2:3], s[2:3]
	v_mul_f64 v[32:33], v[4:5], s[2:3]
	v_addc_co_u32_e64 v1, s[0:1], v1, v52, s[0:1]
	v_fma_f64 v[2:3], v[28:29], v[40:41], v[6:7]
	v_fma_f64 v[4:5], v[28:29], v[42:43], -v[44:45]
	ds_read_b128 v[36:39], v244 offset:1440
	global_store_dwordx4 v[0:1], v[30:33], off
	v_add_co_u32_e64 v0, s[0:1], s4, v0
	v_mul_f64 v[28:29], v[2:3], s[2:3]
	v_mul_f64 v[30:31], v[4:5], s[2:3]
	v_addc_co_u32_e64 v1, s[0:1], v1, v52, s[0:1]
	global_store_dwordx4 v[0:1], v[28:31], off
	v_add_co_u32_e64 v0, s[0:1], s4, v0
	v_addc_co_u32_e64 v1, s[0:1], v1, v52, s[0:1]
	s_waitcnt vmcnt(2) lgkmcnt(1)
	v_mul_f64 v[14:15], v[10:11], v[20:21]
	v_mul_f64 v[6:7], v[10:11], v[22:23]
	v_fma_f64 v[4:5], v[8:9], v[22:23], -v[14:15]
	ds_read_b128 v[12:15], v244 offset:1680
	buffer_load_dword v30, off, s[40:43], 0 offset:16 ; 4-byte Folded Reload
	buffer_load_dword v31, off, s[40:43], 0 offset:20 ; 4-byte Folded Reload
	;; [unrolled: 1-line block ×4, first 2 shown]
	v_fma_f64 v[2:3], v[8:9], v[20:21], v[6:7]
	s_waitcnt lgkmcnt(1)
	v_mul_f64 v[6:7], v[26:27], v[38:39]
	v_mul_f64 v[26:27], v[26:27], v[36:37]
	;; [unrolled: 1-line block ×4, first 2 shown]
	v_fma_f64 v[2:3], v[24:25], v[36:37], v[6:7]
	v_fma_f64 v[4:5], v[24:25], v[38:39], -v[26:27]
	ds_read_b128 v[24:27], v244 offset:1920
	global_store_dwordx4 v[0:1], v[20:23], off
	s_nop 0
	v_mul_f64 v[20:21], v[2:3], s[2:3]
	v_mul_f64 v[22:23], v[4:5], s[2:3]
	v_add_co_u32_e64 v0, s[0:1], s4, v0
	v_addc_co_u32_e64 v1, s[0:1], v1, v52, s[0:1]
	s_waitcnt vmcnt(1) lgkmcnt(1)
	v_mul_f64 v[6:7], v[32:33], v[14:15]
	v_mul_f64 v[28:29], v[32:33], v[12:13]
	v_fma_f64 v[2:3], v[30:31], v[12:13], v[6:7]
	ds_read_b128 v[4:7], v244 offset:2160
	buffer_load_dword v8, off, s[40:43], 0 offset:32 ; 4-byte Folded Reload
	buffer_load_dword v9, off, s[40:43], 0 offset:36 ; 4-byte Folded Reload
	;; [unrolled: 1-line block ×4, first 2 shown]
	v_fma_f64 v[12:13], v[30:31], v[14:15], -v[28:29]
	global_store_dwordx4 v[0:1], v[20:23], off
	ds_read_b128 v[20:23], v244 offset:2400
	buffer_load_dword v30, off, s[40:43], 0 ; 4-byte Folded Reload
	buffer_load_dword v31, off, s[40:43], 0 offset:4 ; 4-byte Folded Reload
	buffer_load_dword v32, off, s[40:43], 0 offset:8 ; 4-byte Folded Reload
	;; [unrolled: 1-line block ×3, first 2 shown]
	v_add_co_u32_e64 v0, s[0:1], s4, v0
	v_addc_co_u32_e64 v1, s[0:1], v1, v52, s[0:1]
	v_mul_f64 v[12:13], v[12:13], s[2:3]
	s_waitcnt vmcnt(5) lgkmcnt(2)
	v_mul_f64 v[14:15], v[10:11], v[26:27]
	v_mul_f64 v[28:29], v[10:11], v[24:25]
	;; [unrolled: 1-line block ×3, first 2 shown]
	v_fma_f64 v[2:3], v[8:9], v[24:25], v[14:15]
	v_fma_f64 v[14:15], v[8:9], v[26:27], -v[28:29]
	s_waitcnt vmcnt(0) lgkmcnt(1)
	v_mul_f64 v[24:25], v[32:33], v[6:7]
	v_mul_f64 v[26:27], v[32:33], v[4:5]
	s_waitcnt lgkmcnt(0)
	v_mul_f64 v[28:29], v[18:19], v[22:23]
	v_mul_f64 v[18:19], v[18:19], v[20:21]
	global_store_dwordx4 v[0:1], v[10:13], off
	v_mul_f64 v[8:9], v[2:3], s[2:3]
	v_mul_f64 v[10:11], v[14:15], s[2:3]
	v_fma_f64 v[2:3], v[30:31], v[4:5], v[24:25]
	v_fma_f64 v[4:5], v[30:31], v[6:7], -v[26:27]
	v_fma_f64 v[6:7], v[16:17], v[20:21], v[28:29]
	v_fma_f64 v[12:13], v[16:17], v[22:23], -v[18:19]
	v_add_co_u32_e64 v14, s[0:1], s4, v0
	v_addc_co_u32_e64 v15, s[0:1], v1, v52, s[0:1]
	v_mul_f64 v[0:1], v[2:3], s[2:3]
	v_mul_f64 v[2:3], v[4:5], s[2:3]
	;; [unrolled: 1-line block ×4, first 2 shown]
	global_store_dwordx4 v[14:15], v[8:11], off
	s_nop 0
	v_add_co_u32_e64 v8, s[0:1], s4, v14
	v_addc_co_u32_e64 v9, s[0:1], v15, v52, s[0:1]
	global_store_dwordx4 v[8:9], v[0:3], off
	s_nop 0
	v_add_co_u32_e64 v0, s[0:1], s4, v8
	v_addc_co_u32_e64 v1, s[0:1], v9, v52, s[0:1]
	global_store_dwordx4 v[0:1], v[4:7], off
	s_and_b64 exec, exec, vcc
	s_cbranch_execz .LBB0_15
; %bb.14:
	global_load_dwordx4 v[2:5], v[208:209], off offset:176
	ds_read_b128 v[6:9], v211 offset:176
	v_mov_b32_e32 v18, s5
	v_mov_b32_e32 v19, 0x1e0
	s_mul_i32 s5, s9, 0x1e0
	v_or_b32_e32 v20, 0x74, v255
	s_waitcnt vmcnt(0) lgkmcnt(0)
	v_mul_f64 v[10:11], v[8:9], v[4:5]
	v_mul_f64 v[4:5], v[6:7], v[4:5]
	v_fma_f64 v[6:7], v[6:7], v[2:3], v[10:11]
	v_fma_f64 v[4:5], v[2:3], v[8:9], -v[4:5]
	v_mul_f64 v[2:3], v[6:7], s[2:3]
	v_mul_f64 v[4:5], v[4:5], s[2:3]
	v_mov_b32_e32 v6, 0xfffff750
	v_mad_u64_u32 v[12:13], s[0:1], s8, v6, v[0:1]
	s_mul_i32 s0, s9, 0xfffff750
	s_sub_i32 s0, s0, s8
	v_add_u32_e32 v13, s0, v13
	v_mad_u64_u32 v[16:17], s[0:1], s8, v243, 0
	global_store_dwordx4 v[12:13], v[2:5], off
	global_load_dwordx4 v[0:3], v[208:209], off offset:416
	ds_read_b128 v[4:7], v244 offset:416
	ds_read_b128 v[8:11], v244 offset:656
	s_waitcnt vmcnt(0) lgkmcnt(1)
	v_mul_f64 v[14:15], v[6:7], v[2:3]
	v_mul_f64 v[2:3], v[4:5], v[2:3]
	v_fma_f64 v[4:5], v[4:5], v[0:1], v[14:15]
	v_fma_f64 v[2:3], v[0:1], v[6:7], -v[2:3]
	v_mul_f64 v[0:1], v[4:5], s[2:3]
	v_mul_f64 v[2:3], v[2:3], s[2:3]
	v_add_co_u32_e32 v4, vcc, s4, v12
	v_addc_co_u32_e32 v5, vcc, v13, v18, vcc
	v_add_co_u32_e32 v12, vcc, s4, v4
	v_addc_co_u32_e32 v13, vcc, v5, v18, vcc
	global_store_dwordx4 v[4:5], v[0:3], off
	global_load_dwordx4 v[0:3], v[208:209], off offset:656
	s_waitcnt vmcnt(0) lgkmcnt(0)
	v_mul_f64 v[6:7], v[10:11], v[2:3]
	v_mul_f64 v[2:3], v[8:9], v[2:3]
	v_fma_f64 v[6:7], v[8:9], v[0:1], v[6:7]
	v_fma_f64 v[2:3], v[0:1], v[10:11], -v[2:3]
	v_mul_f64 v[0:1], v[6:7], s[2:3]
	v_mul_f64 v[2:3], v[2:3], s[2:3]
	global_store_dwordx4 v[12:13], v[0:3], off
	global_load_dwordx4 v[0:3], v[208:209], off offset:896
	ds_read_b128 v[4:7], v244 offset:896
	ds_read_b128 v[8:11], v244 offset:1136
	v_mad_u64_u32 v[12:13], s[0:1], s8, v19, v[12:13]
	v_add_u32_e32 v13, s5, v13
	s_waitcnt vmcnt(0) lgkmcnt(1)
	v_mul_f64 v[14:15], v[6:7], v[2:3]
	v_mul_f64 v[2:3], v[4:5], v[2:3]
	v_fma_f64 v[4:5], v[4:5], v[0:1], v[14:15]
	v_fma_f64 v[2:3], v[0:1], v[6:7], -v[2:3]
	v_mov_b32_e32 v0, v17
	v_mad_u64_u32 v[6:7], s[0:1], s9, v243, v[0:1]
	v_mov_b32_e32 v17, v6
	v_mul_f64 v[0:1], v[4:5], s[2:3]
	v_mul_f64 v[2:3], v[2:3], s[2:3]
	v_lshlrev_b64 v[4:5], 4, v[16:17]
	v_mad_u64_u32 v[16:17], s[0:1], s8, v20, 0
	v_add_co_u32_e32 v4, vcc, v34, v4
	v_addc_co_u32_e32 v5, vcc, v35, v5, vcc
	global_store_dwordx4 v[4:5], v[0:3], off
	global_load_dwordx4 v[0:3], v[208:209], off offset:1136
	s_waitcnt vmcnt(0) lgkmcnt(0)
	v_mul_f64 v[4:5], v[10:11], v[2:3]
	v_mul_f64 v[2:3], v[8:9], v[2:3]
	v_fma_f64 v[4:5], v[8:9], v[0:1], v[4:5]
	v_fma_f64 v[2:3], v[0:1], v[10:11], -v[2:3]
	v_mul_f64 v[0:1], v[4:5], s[2:3]
	v_mul_f64 v[2:3], v[2:3], s[2:3]
	global_store_dwordx4 v[12:13], v[0:3], off
	global_load_dwordx4 v[0:3], v[208:209], off offset:1376
	ds_read_b128 v[4:7], v244 offset:1376
	ds_read_b128 v[8:11], v244 offset:1616
	s_waitcnt vmcnt(0) lgkmcnt(1)
	v_mul_f64 v[14:15], v[6:7], v[2:3]
	v_mul_f64 v[2:3], v[4:5], v[2:3]
	v_fma_f64 v[4:5], v[4:5], v[0:1], v[14:15]
	v_fma_f64 v[2:3], v[0:1], v[6:7], -v[2:3]
	v_mul_f64 v[0:1], v[4:5], s[2:3]
	v_mul_f64 v[2:3], v[2:3], s[2:3]
	v_add_co_u32_e32 v4, vcc, s4, v12
	v_addc_co_u32_e32 v5, vcc, v13, v18, vcc
	v_add_co_u32_e32 v12, vcc, s4, v4
	v_addc_co_u32_e32 v13, vcc, v5, v18, vcc
	global_store_dwordx4 v[4:5], v[0:3], off
	global_load_dwordx4 v[0:3], v[208:209], off offset:1616
	s_waitcnt vmcnt(0) lgkmcnt(0)
	v_mul_f64 v[6:7], v[10:11], v[2:3]
	v_mul_f64 v[2:3], v[8:9], v[2:3]
	v_fma_f64 v[6:7], v[8:9], v[0:1], v[6:7]
	v_fma_f64 v[2:3], v[0:1], v[10:11], -v[2:3]
	v_mul_f64 v[0:1], v[6:7], s[2:3]
	v_mul_f64 v[2:3], v[2:3], s[2:3]
	global_store_dwordx4 v[12:13], v[0:3], off
	global_load_dwordx4 v[0:3], v[208:209], off offset:1856
	ds_read_b128 v[4:7], v244 offset:1856
	ds_read_b128 v[8:11], v244 offset:2096
	v_mad_u64_u32 v[12:13], s[0:1], s8, v19, v[12:13]
	v_add_u32_e32 v13, s5, v13
	s_waitcnt vmcnt(0) lgkmcnt(1)
	v_mul_f64 v[14:15], v[6:7], v[2:3]
	v_mul_f64 v[2:3], v[4:5], v[2:3]
	v_fma_f64 v[4:5], v[4:5], v[0:1], v[14:15]
	v_fma_f64 v[2:3], v[0:1], v[6:7], -v[2:3]
	v_mov_b32_e32 v0, v17
	v_mad_u64_u32 v[6:7], s[0:1], s9, v20, v[0:1]
	v_mov_b32_e32 v17, v6
	v_mul_f64 v[0:1], v[4:5], s[2:3]
	v_mul_f64 v[2:3], v[2:3], s[2:3]
	v_lshlrev_b64 v[4:5], 4, v[16:17]
	v_add_co_u32_e32 v4, vcc, v34, v4
	v_addc_co_u32_e32 v5, vcc, v35, v5, vcc
	global_store_dwordx4 v[4:5], v[0:3], off
	global_load_dwordx4 v[0:3], v[208:209], off offset:2096
	s_waitcnt vmcnt(0) lgkmcnt(0)
	v_mul_f64 v[4:5], v[10:11], v[2:3]
	v_mul_f64 v[2:3], v[8:9], v[2:3]
	v_fma_f64 v[4:5], v[8:9], v[0:1], v[4:5]
	v_fma_f64 v[2:3], v[0:1], v[10:11], -v[2:3]
	v_mul_f64 v[0:1], v[4:5], s[2:3]
	v_mul_f64 v[2:3], v[2:3], s[2:3]
	global_store_dwordx4 v[12:13], v[0:3], off
	global_load_dwordx4 v[0:3], v[208:209], off offset:2336
	ds_read_b128 v[4:7], v244 offset:2336
	ds_read_b128 v[8:11], v244 offset:2576
	s_waitcnt vmcnt(0) lgkmcnt(1)
	v_mul_f64 v[14:15], v[6:7], v[2:3]
	v_mul_f64 v[2:3], v[4:5], v[2:3]
	v_fma_f64 v[4:5], v[4:5], v[0:1], v[14:15]
	v_fma_f64 v[2:3], v[0:1], v[6:7], -v[2:3]
	v_mul_f64 v[0:1], v[4:5], s[2:3]
	v_mul_f64 v[2:3], v[2:3], s[2:3]
	v_add_co_u32_e32 v4, vcc, s4, v12
	v_addc_co_u32_e32 v5, vcc, v13, v18, vcc
	global_store_dwordx4 v[4:5], v[0:3], off
	global_load_dwordx4 v[0:3], v[208:209], off offset:2576
	v_add_co_u32_e32 v4, vcc, s4, v4
	v_addc_co_u32_e32 v5, vcc, v5, v18, vcc
	s_waitcnt vmcnt(0) lgkmcnt(0)
	v_mul_f64 v[6:7], v[10:11], v[2:3]
	v_mul_f64 v[2:3], v[8:9], v[2:3]
	v_fma_f64 v[6:7], v[8:9], v[0:1], v[6:7]
	v_fma_f64 v[2:3], v[0:1], v[10:11], -v[2:3]
	v_mul_f64 v[0:1], v[6:7], s[2:3]
	v_mul_f64 v[2:3], v[2:3], s[2:3]
	global_store_dwordx4 v[4:5], v[0:3], off
.LBB0_15:
	s_endpgm
	.section	.rodata,"a",@progbits
	.p2align	6, 0x0
	.amdhsa_kernel bluestein_single_fwd_len165_dim1_dp_op_CI_CI
		.amdhsa_group_segment_fixed_size 13200
		.amdhsa_private_segment_fixed_size 68
		.amdhsa_kernarg_size 104
		.amdhsa_user_sgpr_count 6
		.amdhsa_user_sgpr_private_segment_buffer 1
		.amdhsa_user_sgpr_dispatch_ptr 0
		.amdhsa_user_sgpr_queue_ptr 0
		.amdhsa_user_sgpr_kernarg_segment_ptr 1
		.amdhsa_user_sgpr_dispatch_id 0
		.amdhsa_user_sgpr_flat_scratch_init 0
		.amdhsa_user_sgpr_private_segment_size 0
		.amdhsa_uses_dynamic_stack 0
		.amdhsa_system_sgpr_private_segment_wavefront_offset 1
		.amdhsa_system_sgpr_workgroup_id_x 1
		.amdhsa_system_sgpr_workgroup_id_y 0
		.amdhsa_system_sgpr_workgroup_id_z 0
		.amdhsa_system_sgpr_workgroup_info 0
		.amdhsa_system_vgpr_workitem_id 0
		.amdhsa_next_free_vgpr 256
		.amdhsa_next_free_sgpr 44
		.amdhsa_reserve_vcc 1
		.amdhsa_reserve_flat_scratch 0
		.amdhsa_float_round_mode_32 0
		.amdhsa_float_round_mode_16_64 0
		.amdhsa_float_denorm_mode_32 3
		.amdhsa_float_denorm_mode_16_64 3
		.amdhsa_dx10_clamp 1
		.amdhsa_ieee_mode 1
		.amdhsa_fp16_overflow 0
		.amdhsa_exception_fp_ieee_invalid_op 0
		.amdhsa_exception_fp_denorm_src 0
		.amdhsa_exception_fp_ieee_div_zero 0
		.amdhsa_exception_fp_ieee_overflow 0
		.amdhsa_exception_fp_ieee_underflow 0
		.amdhsa_exception_fp_ieee_inexact 0
		.amdhsa_exception_int_div_zero 0
	.end_amdhsa_kernel
	.text
.Lfunc_end0:
	.size	bluestein_single_fwd_len165_dim1_dp_op_CI_CI, .Lfunc_end0-bluestein_single_fwd_len165_dim1_dp_op_CI_CI
                                        ; -- End function
	.section	.AMDGPU.csdata,"",@progbits
; Kernel info:
; codeLenInByte = 23436
; NumSgprs: 48
; NumVgprs: 256
; ScratchSize: 68
; MemoryBound: 0
; FloatMode: 240
; IeeeMode: 1
; LDSByteSize: 13200 bytes/workgroup (compile time only)
; SGPRBlocks: 5
; VGPRBlocks: 63
; NumSGPRsForWavesPerEU: 48
; NumVGPRsForWavesPerEU: 256
; Occupancy: 1
; WaveLimiterHint : 1
; COMPUTE_PGM_RSRC2:SCRATCH_EN: 1
; COMPUTE_PGM_RSRC2:USER_SGPR: 6
; COMPUTE_PGM_RSRC2:TRAP_HANDLER: 0
; COMPUTE_PGM_RSRC2:TGID_X_EN: 1
; COMPUTE_PGM_RSRC2:TGID_Y_EN: 0
; COMPUTE_PGM_RSRC2:TGID_Z_EN: 0
; COMPUTE_PGM_RSRC2:TIDIG_COMP_CNT: 0
	.type	__hip_cuid_49f7679408f4d157,@object ; @__hip_cuid_49f7679408f4d157
	.section	.bss,"aw",@nobits
	.globl	__hip_cuid_49f7679408f4d157
__hip_cuid_49f7679408f4d157:
	.byte	0                               ; 0x0
	.size	__hip_cuid_49f7679408f4d157, 1

	.ident	"AMD clang version 19.0.0git (https://github.com/RadeonOpenCompute/llvm-project roc-6.4.0 25133 c7fe45cf4b819c5991fe208aaa96edf142730f1d)"
	.section	".note.GNU-stack","",@progbits
	.addrsig
	.addrsig_sym __hip_cuid_49f7679408f4d157
	.amdgpu_metadata
---
amdhsa.kernels:
  - .args:
      - .actual_access:  read_only
        .address_space:  global
        .offset:         0
        .size:           8
        .value_kind:     global_buffer
      - .actual_access:  read_only
        .address_space:  global
        .offset:         8
        .size:           8
        .value_kind:     global_buffer
      - .actual_access:  read_only
        .address_space:  global
        .offset:         16
        .size:           8
        .value_kind:     global_buffer
      - .actual_access:  read_only
        .address_space:  global
        .offset:         24
        .size:           8
        .value_kind:     global_buffer
      - .actual_access:  read_only
        .address_space:  global
        .offset:         32
        .size:           8
        .value_kind:     global_buffer
      - .offset:         40
        .size:           8
        .value_kind:     by_value
      - .address_space:  global
        .offset:         48
        .size:           8
        .value_kind:     global_buffer
      - .address_space:  global
        .offset:         56
        .size:           8
        .value_kind:     global_buffer
      - .address_space:  global
        .offset:         64
        .size:           8
        .value_kind:     global_buffer
      - .address_space:  global
        .offset:         72
        .size:           8
        .value_kind:     global_buffer
      - .offset:         80
        .size:           4
        .value_kind:     by_value
      - .address_space:  global
        .offset:         88
        .size:           8
        .value_kind:     global_buffer
      - .address_space:  global
        .offset:         96
        .size:           8
        .value_kind:     global_buffer
    .group_segment_fixed_size: 13200
    .kernarg_segment_align: 8
    .kernarg_segment_size: 104
    .language:       OpenCL C
    .language_version:
      - 2
      - 0
    .max_flat_workgroup_size: 55
    .name:           bluestein_single_fwd_len165_dim1_dp_op_CI_CI
    .private_segment_fixed_size: 68
    .sgpr_count:     48
    .sgpr_spill_count: 0
    .symbol:         bluestein_single_fwd_len165_dim1_dp_op_CI_CI.kd
    .uniform_work_group_size: 1
    .uses_dynamic_stack: false
    .vgpr_count:     256
    .vgpr_spill_count: 16
    .wavefront_size: 64
amdhsa.target:   amdgcn-amd-amdhsa--gfx906
amdhsa.version:
  - 1
  - 2
...

	.end_amdgpu_metadata
